;; amdgpu-corpus repo=ROCm/rocFFT kind=compiled arch=gfx1030 opt=O3
	.text
	.amdgcn_target "amdgcn-amd-amdhsa--gfx1030"
	.amdhsa_code_object_version 6
	.protected	bluestein_single_back_len2916_dim1_half_op_CI_CI ; -- Begin function bluestein_single_back_len2916_dim1_half_op_CI_CI
	.globl	bluestein_single_back_len2916_dim1_half_op_CI_CI
	.p2align	8
	.type	bluestein_single_back_len2916_dim1_half_op_CI_CI,@function
bluestein_single_back_len2916_dim1_half_op_CI_CI: ; @bluestein_single_back_len2916_dim1_half_op_CI_CI
; %bb.0:
	s_load_dwordx4 s[16:19], s[4:5], 0x28
	v_mul_u32_u24_e32 v1, 0x10e, v0
	v_mov_b32_e32 v9, 0
	s_mov_b32 s0, exec_lo
	v_lshrrev_b32_e32 v1, 16, v1
	v_add_nc_u32_e32 v8, s6, v1
	s_waitcnt lgkmcnt(0)
	v_cmpx_gt_u64_e64 s[16:17], v[8:9]
	s_cbranch_execz .LBB0_2
; %bb.1:
	s_clause 0x1
	s_load_dwordx4 s[8:11], s[4:5], 0x18
	s_load_dwordx4 s[0:3], s[4:5], 0x0
	v_mul_lo_u16 v1, 0xf3, v1
	v_sub_nc_u16 v17, v0, v1
	v_and_b32_e32 v56, 0xffff, v17
	v_lshlrev_b32_e32 v45, 2, v56
	s_waitcnt lgkmcnt(0)
	s_load_dwordx4 s[12:15], s[8:9], 0x0
	s_clause 0x1
	global_load_dword v43, v45, s[0:1]
	global_load_dword v44, v45, s[0:1] offset:1944
	v_add_co_u32 v67, s6, s0, v45
	v_add_co_ci_u32_e64 v68, null, s1, 0, s6
	v_add_nc_u32_e32 v57, 0x1e40, v45
	v_add_co_u32 v6, vcc_lo, 0x800, v67
	v_add_co_ci_u32_e32 v7, vcc_lo, 0, v68, vcc_lo
	v_add_nc_u32_e32 v58, 0x25e0, v45
	v_add_nc_u32_e32 v59, 0x780, v45
	;; [unrolled: 1-line block ×3, first 2 shown]
	global_load_dword v46, v[6:7], off offset:1840
	v_add_nc_u32_e32 v61, 0x16c0, v45
	s_waitcnt lgkmcnt(0)
	v_mad_u64_u32 v[0:1], null, s14, v8, 0
	v_mad_u64_u32 v[2:3], null, s12, v56, 0
	s_mul_i32 s6, s13, 0x798
	s_mul_hi_u32 s7, s12, 0x798
	s_mul_i32 s8, s12, 0x798
	s_add_i32 s7, s7, s6
	v_mad_u64_u32 v[4:5], null, s15, v8, v[1:2]
	v_mad_u64_u32 v[9:10], null, s13, v56, v[3:4]
	v_mov_b32_e32 v1, v4
	v_add_co_u32 v10, vcc_lo, 0x1000, v67
	v_add_co_ci_u32_e32 v11, vcc_lo, 0, v68, vcc_lo
	v_lshlrev_b64 v[0:1], 2, v[0:1]
	v_mov_b32_e32 v3, v9
	v_add_co_u32 v12, vcc_lo, 0x1800, v67
	global_load_dword v47, v[10:11], off offset:1736
	v_add_co_ci_u32_e32 v13, vcc_lo, 0, v68, vcc_lo
	v_lshlrev_b64 v[2:3], 2, v[2:3]
	v_add_co_u32 v0, vcc_lo, s18, v0
	v_add_co_ci_u32_e32 v1, vcc_lo, s19, v1, vcc_lo
	v_and_b32_e32 v9, 0xff, v17
	v_add_co_u32 v0, vcc_lo, v0, v2
	v_add_co_ci_u32_e32 v1, vcc_lo, v1, v3, vcc_lo
	v_mul_lo_u16 v16, 0xab, v9
	v_add_co_u32 v2, vcc_lo, v0, s8
	v_add_co_ci_u32_e32 v3, vcc_lo, s7, v1, vcc_lo
	global_load_dword v4, v[0:1], off
	v_add_co_u32 v0, vcc_lo, v2, s8
	v_add_co_ci_u32_e32 v1, vcc_lo, s7, v3, vcc_lo
	global_load_dword v3, v[2:3], off
	;; [unrolled: 3-line block ×4, first 2 shown]
	v_add_co_u32 v14, vcc_lo, v18, s8
	v_add_co_ci_u32_e32 v15, vcc_lo, s7, v19, vcc_lo
	v_add_co_u32 v20, vcc_lo, 0x2000, v67
	v_add_co_ci_u32_e32 v21, vcc_lo, 0, v68, vcc_lo
	global_load_dword v1, v[18:19], off
	global_load_dword v48, v[12:13], off offset:1632
	v_mad_u64_u32 v[18:19], null, 0xffffddd4, s12, v[14:15]
	s_clause 0x1
	global_load_dword v49, v45, s[0:1] offset:972
	global_load_dword v50, v[20:21], off offset:1528
	global_load_dword v5, v[14:15], off
	s_mul_i32 s0, s13, 0xffffddd4
	s_clause 0x2
	global_load_dword v51, v[6:7], off offset:868
	global_load_dword v52, v[10:11], off offset:764
	;; [unrolled: 1-line block ×3, first 2 shown]
	s_sub_i32 s0, s0, s12
	v_add_co_u32 v6, vcc_lo, v18, s8
	v_add_nc_u32_e32 v19, s0, v19
	v_lshrrev_b16 v16, 10, v16
	v_add_co_ci_u32_e32 v7, vcc_lo, s7, v19, vcc_lo
	global_load_dword v11, v[18:19], off
	v_add_co_u32 v12, vcc_lo, v6, s8
	v_add_co_ci_u32_e32 v13, vcc_lo, s7, v7, vcc_lo
	global_load_dword v10, v[6:7], off
	v_add_co_u32 v14, vcc_lo, v12, s8
	v_add_co_ci_u32_e32 v15, vcc_lo, s7, v13, vcc_lo
	global_load_dword v7, v[12:13], off
	v_add_co_u32 v12, vcc_lo, v14, s8
	v_add_co_ci_u32_e32 v13, vcc_lo, s7, v15, vcc_lo
	global_load_dword v6, v[14:15], off
	v_add_co_u32 v14, vcc_lo, v12, s8
	v_add_co_ci_u32_e32 v15, vcc_lo, s7, v13, vcc_lo
	v_add_co_u32 v25, vcc_lo, 0x2800, v67
	global_load_dword v12, v[12:13], off
	v_add_co_ci_u32_e32 v26, vcc_lo, 0, v68, vcc_lo
	global_load_dword v13, v[14:15], off
	s_clause 0x1
	global_load_dword v54, v[20:21], off offset:556
	global_load_dword v55, v[25:26], off offset:452
	v_mov_b32_e32 v14, 0xaaab
	v_add_co_u32 v19, s0, 0xf3, v56
	s_load_dwordx4 s[48:51], s[10:11], 0x0
	v_mul_lo_u16 v21, v16, 6
	v_mov_b32_e32 v18, 2
	v_mul_u32_u24_sdwa v14, v19, v14 dst_sel:DWORD dst_unused:UNUSED_PAD src0_sel:WORD_0 src1_sel:DWORD
	v_mul_lo_u16 v15, v17, 6
	v_add_co_ci_u32_e64 v22, null, 0, 0, s0
	v_cmp_gt_u16_e32 vcc_lo, 0x51, v17
	v_lshrrev_b32_e32 v23, 18, v14
	v_lshlrev_b32_sdwa v82, v18, v15 dst_sel:DWORD dst_unused:UNUSED_PAD src0_sel:DWORD src1_sel:WORD_0
	v_mul_lo_u16 v20, v23, 6
	v_sub_nc_u16 v29, v19, v20
	s_waitcnt lgkmcnt(0)
	s_mul_i32 s47, s48, 0x798
	s_waitcnt vmcnt(19)
	v_lshrrev_b32_e32 v14, 16, v4
	v_mul_f16_sdwa v24, v43, v4 dst_sel:DWORD dst_unused:UNUSED_PAD src0_sel:WORD_1 src1_sel:DWORD
	v_mul_f16_sdwa v27, v43, v14 dst_sel:DWORD dst_unused:UNUSED_PAD src0_sel:WORD_1 src1_sel:DWORD
	s_waitcnt vmcnt(18)
	v_lshrrev_b32_e32 v28, 16, v3
	v_mul_f16_sdwa v20, v44, v3 dst_sel:DWORD dst_unused:UNUSED_PAD src0_sel:WORD_1 src1_sel:DWORD
	v_fma_f16 v14, v43, v14, -v24
	v_fmac_f16_e32 v27, v43, v4
	v_mul_f16_sdwa v4, v44, v28 dst_sel:DWORD dst_unused:UNUSED_PAD src0_sel:WORD_1 src1_sel:DWORD
	s_waitcnt vmcnt(17)
	v_lshrrev_b32_e32 v24, 16, v2
	v_fma_f16 v20, v44, v28, -v20
	v_mul_f16_sdwa v28, v46, v2 dst_sel:DWORD dst_unused:UNUSED_PAD src0_sel:WORD_1 src1_sel:DWORD
	v_pack_b32_f16 v14, v27, v14
	v_fmac_f16_e32 v4, v44, v3
	v_mul_f16_sdwa v3, v46, v24 dst_sel:DWORD dst_unused:UNUSED_PAD src0_sel:WORD_1 src1_sel:DWORD
	s_waitcnt vmcnt(16)
	v_lshrrev_b32_e32 v27, 16, v0
	v_fma_f16 v24, v46, v24, -v28
	v_mul_f16_sdwa v28, v47, v0 dst_sel:DWORD dst_unused:UNUSED_PAD src0_sel:WORD_1 src1_sel:DWORD
	v_pack_b32_f16 v4, v4, v20
	v_fmac_f16_e32 v3, v46, v2
	s_waitcnt vmcnt(15)
	v_lshrrev_b32_e32 v20, 16, v1
	v_mul_f16_sdwa v2, v47, v27 dst_sel:DWORD dst_unused:UNUSED_PAD src0_sel:WORD_1 src1_sel:DWORD
	v_fma_f16 v27, v47, v27, -v28
	s_waitcnt vmcnt(14)
	v_mul_f16_sdwa v28, v48, v1 dst_sel:DWORD dst_unused:UNUSED_PAD src0_sel:WORD_1 src1_sel:DWORD
	ds_write_b32 v45, v4 offset:1944
	v_pack_b32_f16 v3, v3, v24
	v_mul_f16_sdwa v4, v48, v20 dst_sel:DWORD dst_unused:UNUSED_PAD src0_sel:WORD_1 src1_sel:DWORD
	s_waitcnt vmcnt(11)
	v_lshrrev_b32_e32 v24, 16, v5
	v_fmac_f16_e32 v2, v47, v0
	v_fma_f16 v0, v48, v20, -v28
	v_mul_f16_sdwa v20, v50, v5 dst_sel:DWORD dst_unused:UNUSED_PAD src0_sel:WORD_1 src1_sel:DWORD
	v_fmac_f16_e32 v4, v48, v1
	v_mul_f16_sdwa v1, v50, v24 dst_sel:DWORD dst_unused:UNUSED_PAD src0_sel:WORD_1 src1_sel:DWORD
	ds_write_b32 v45, v3 offset:3888
	v_pack_b32_f16 v2, v2, v27
	v_fma_f16 v3, v50, v24, -v20
	v_pack_b32_f16 v0, v4, v0
	v_fmac_f16_e32 v1, v50, v5
	s_waitcnt vmcnt(7)
	v_lshrrev_b32_e32 v4, 16, v11
	ds_write_b32 v45, v2 offset:5832
	v_mul_f16_sdwa v2, v49, v11 dst_sel:DWORD dst_unused:UNUSED_PAD src0_sel:WORD_1 src1_sel:DWORD
	ds_write_b32 v45, v0 offset:7776
	v_pack_b32_f16 v0, v1, v3
	v_mul_f16_sdwa v1, v49, v4 dst_sel:DWORD dst_unused:UNUSED_PAD src0_sel:WORD_1 src1_sel:DWORD
	s_waitcnt vmcnt(6)
	v_lshrrev_b32_e32 v3, 16, v10
	v_fma_f16 v2, v49, v4, -v2
	v_mul_f16_sdwa v4, v51, v10 dst_sel:DWORD dst_unused:UNUSED_PAD src0_sel:WORD_1 src1_sel:DWORD
	ds_write_b32 v45, v0 offset:9720
	v_fmac_f16_e32 v1, v49, v11
	s_waitcnt vmcnt(5)
	v_lshrrev_b32_e32 v5, 16, v7
	v_mul_f16_sdwa v11, v52, v7 dst_sel:DWORD dst_unused:UNUSED_PAD src0_sel:WORD_1 src1_sel:DWORD
	v_mul_f16_sdwa v0, v51, v3 dst_sel:DWORD dst_unused:UNUSED_PAD src0_sel:WORD_1 src1_sel:DWORD
	v_fma_f16 v3, v51, v3, -v4
	v_pack_b32_f16 v1, v1, v2
	v_mul_f16_sdwa v2, v52, v5 dst_sel:DWORD dst_unused:UNUSED_PAD src0_sel:WORD_1 src1_sel:DWORD
	v_fma_f16 v4, v52, v5, -v11
	s_waitcnt vmcnt(4)
	v_lshrrev_b32_e32 v5, 16, v6
	v_fmac_f16_e32 v0, v51, v10
	v_mul_f16_sdwa v10, v53, v6 dst_sel:DWORD dst_unused:UNUSED_PAD src0_sel:WORD_1 src1_sel:DWORD
	ds_write2_b32 v45, v14, v1 offset1:243
	s_waitcnt vmcnt(3)
	v_lshrrev_b32_e32 v1, 16, v12
	v_fmac_f16_e32 v2, v52, v7
	s_waitcnt vmcnt(2)
	v_lshrrev_b32_e32 v11, 16, v13
	v_mul_f16_sdwa v7, v53, v5 dst_sel:DWORD dst_unused:UNUSED_PAD src0_sel:WORD_1 src1_sel:DWORD
	v_fma_f16 v5, v53, v5, -v10
	s_waitcnt vmcnt(1)
	v_mul_f16_sdwa v10, v54, v12 dst_sel:DWORD dst_unused:UNUSED_PAD src0_sel:WORD_1 src1_sel:DWORD
	v_mul_f16_sdwa v14, v54, v1 dst_sel:DWORD dst_unused:UNUSED_PAD src0_sel:WORD_1 src1_sel:DWORD
	s_waitcnt vmcnt(0)
	v_mul_f16_sdwa v20, v55, v13 dst_sel:DWORD dst_unused:UNUSED_PAD src0_sel:WORD_1 src1_sel:DWORD
	v_mul_f16_sdwa v24, v55, v11 dst_sel:DWORD dst_unused:UNUSED_PAD src0_sel:WORD_1 src1_sel:DWORD
	v_fmac_f16_e32 v7, v53, v6
	v_fma_f16 v1, v54, v1, -v10
	v_fmac_f16_e32 v14, v54, v12
	v_fma_f16 v6, v55, v11, -v20
	v_fmac_f16_e32 v24, v55, v13
	v_pack_b32_f16 v0, v0, v3
	v_pack_b32_f16 v2, v2, v4
	;; [unrolled: 1-line block ×5, first 2 shown]
	ds_write_b32 v45, v0 offset:2916
	ds_write_b32 v45, v2 offset:4860
	;; [unrolled: 1-line block ×5, first 2 shown]
	s_waitcnt lgkmcnt(0)
	s_barrier
	buffer_gl0_inv
	ds_read2_b32 v[0:1], v45 offset1:243
	ds_read2_b32 v[2:3], v59 offset0:6 offset1:249
	ds_read2_b32 v[4:5], v60 offset0:12 offset1:255
	;; [unrolled: 1-line block ×5, first 2 shown]
	v_sub_nc_u16 v20, v17, v21
	v_mul_lo_u16 v21, v29, 20
	v_mul_u32_u24_e32 v14, 6, v19
	s_waitcnt lgkmcnt(0)
	s_barrier
	v_and_b32_e32 v24, 0xff, v20
	v_and_b32_e32 v20, 0xffff, v21
	v_lshlrev_b32_e32 v81, 2, v14
	buffer_gl0_inv
	v_mad_u64_u32 v[14:15], null, v24, 20, s[2:3]
	v_add_co_u32 v20, s0, s2, v20
	v_add_co_ci_u32_e64 v21, null, s3, 0, s0
	v_pk_add_f16 v27, v1, v5
	v_pk_add_f16 v30, v0, v4
	;; [unrolled: 1-line block ×3, first 2 shown]
	v_pk_add_f16 v4, v4, v10 neg_lo:[0,1] neg_hi:[0,1]
	v_pk_add_f16 v33, v6, v12
	v_pk_add_f16 v35, v7, v13
	;; [unrolled: 1-line block ×4, first 2 shown]
	v_pk_add_f16 v6, v6, v12 neg_lo:[0,1] neg_hi:[0,1]
	v_pk_add_f16 v34, v5, v11
	v_pk_add_f16 v5, v5, v11 neg_lo:[0,1] neg_hi:[0,1]
	v_pk_add_f16 v11, v27, v11
	v_pk_fma_f16 v27, v32, 0.5, v0 op_sel_hi:[1,0,1] neg_lo:[1,0,0] neg_hi:[1,0,0]
	v_pk_mul_f16 v4, 0x3aee, v4 op_sel_hi:[0,1]
	v_pk_fma_f16 v2, v33, 0.5, v2 op_sel_hi:[1,0,1] neg_lo:[1,0,0] neg_hi:[1,0,0]
	v_pk_add_f16 v7, v7, v13 neg_lo:[0,1] neg_hi:[0,1]
	v_pk_fma_f16 v3, v35, 0.5, v3 op_sel_hi:[1,0,1] neg_lo:[1,0,0] neg_hi:[1,0,0]
	v_pk_add_f16 v13, v28, v13
	v_pk_add_f16 v10, v30, v10
	;; [unrolled: 1-line block ×3, first 2 shown]
	v_pk_fma_f16 v1, v34, 0.5, v1 op_sel_hi:[1,0,1] neg_lo:[1,0,0] neg_hi:[1,0,0]
	v_pk_mul_f16 v5, 0x3aee, v5 op_sel_hi:[0,1]
	v_pk_add_f16 v28, v27, v4 op_sel:[0,1] op_sel_hi:[1,0]
	v_pk_add_f16 v27, v27, v4 op_sel:[0,1] op_sel_hi:[1,0] neg_lo:[0,1] neg_hi:[0,1]
	v_pk_fma_f16 v4, 0x3aee, v6, v2 op_sel:[0,0,1] op_sel_hi:[0,1,0]
	v_pk_fma_f16 v6, 0x3aee, v6, v2 op_sel:[0,0,1] op_sel_hi:[0,1,0] neg_lo:[0,1,0] neg_hi:[0,1,0]
	v_pk_fma_f16 v31, 0x3aee, v7, v3 op_sel:[0,0,1] op_sel_hi:[0,1,0]
	v_pk_fma_f16 v3, 0x3aee, v7, v3 op_sel:[0,0,1] op_sel_hi:[0,1,0] neg_lo:[0,1,0] neg_hi:[0,1,0]
	v_pk_add_f16 v0, v11, v13
	v_pk_add_f16 v30, v1, v5 op_sel:[0,1] op_sel_hi:[1,0]
	v_pk_add_f16 v1, v1, v5 op_sel:[0,1] op_sel_hi:[1,0] neg_lo:[0,1] neg_hi:[0,1]
	v_pk_add_f16 v2, v10, v12
	v_pk_add_f16 v5, v10, v12 neg_lo:[0,1] neg_hi:[0,1]
	v_pk_add_f16 v7, v11, v13 neg_lo:[0,1] neg_hi:[0,1]
	v_lshrrev_b32_e32 v10, 16, v4
	v_mul_f16_e32 v11, 0x3aee, v6
	v_bfi_b32 v4, 0xffff, v4, v6
	v_lshrrev_b32_e32 v12, 16, v31
	v_bfi_b32 v31, 0xffff, v31, v3
	v_mul_f16_e32 v13, 0x3aee, v3
	v_fmac_f16_e32 v11, 0.5, v10
	v_mul_f16_e32 v10, 0xbaee, v10
	v_pk_mul_f16 v34, v4, 0.5 op_sel_hi:[1,0]
	v_mul_f16_e32 v35, 0xbaee, v12
	v_pk_mul_f16 v36, v31, 0.5 op_sel_hi:[1,0]
	v_fmac_f16_e32 v13, 0.5, v12
	v_fmac_f16_e32 v10, 0.5, v6
	v_pk_fma_f16 v6, 0xbaee3aee, v4, v34 op_sel:[0,0,1] op_sel_hi:[1,1,0] neg_lo:[0,0,1] neg_hi:[0,0,1]
	v_bfi_b32 v32, 0xffff, v27, v28
	v_fmac_f16_e32 v35, 0.5, v3
	v_pk_fma_f16 v3, 0xbaee3aee, v31, v36 op_sel:[0,0,1] op_sel_hi:[1,1,0] neg_lo:[0,0,1] neg_hi:[0,0,1]
	v_bfi_b32 v33, 0xffff, v1, v30
	v_add_f16_e32 v12, v28, v11
	v_sub_f16_e32 v31, v28, v11
	v_add_f16_e32 v11, v30, v13
	v_sub_f16_e32 v34, v30, v13
	v_sub_f16_sdwa v13, v28, v6 dst_sel:DWORD dst_unused:UNUSED_PAD src0_sel:WORD_1 src1_sel:WORD_1
	v_pack_b32_f16 v28, v10, v6
	v_pk_add_f16 v4, v32, v6
	v_pack_b32_f16 v32, v35, v3
	v_add_f16_sdwa v10, v27, v10 dst_sel:DWORD dst_unused:UNUSED_PAD src0_sel:WORD_1 src1_sel:DWORD
	v_pk_add_f16 v6, v33, v3
	v_add_f16_sdwa v33, v1, v35 dst_sel:DWORD dst_unused:UNUSED_PAD src0_sel:WORD_1 src1_sel:DWORD
	v_pk_add_f16 v27, v27, v28 op_sel:[1,0] op_sel_hi:[0,1] neg_lo:[0,1] neg_hi:[0,1]
	v_sub_f16_sdwa v28, v30, v3 dst_sel:DWORD dst_unused:UNUSED_PAD src0_sel:WORD_1 src1_sel:WORD_1
	v_pk_add_f16 v30, v1, v32 op_sel:[1,0] op_sel_hi:[0,1] neg_lo:[0,1] neg_hi:[0,1]
	v_pack_b32_f16 v3, v12, v10
	v_pack_b32_f16 v1, v11, v33
	v_alignbit_b32 v11, v13, v27, 16
	v_pack_b32_f16 v10, v31, v27
	v_alignbit_b32 v13, v28, v30, 16
	v_pack_b32_f16 v12, v34, v30
	ds_write2_b64 v82, v[2:3], v[4:5] offset1:1
	ds_write_b64 v82, v[10:11] offset:16
	ds_write2_b64 v81, v[0:1], v[6:7] offset1:1
	ds_write_b64 v81, v[12:13] offset:16
	s_waitcnt lgkmcnt(0)
	s_barrier
	buffer_gl0_inv
	s_clause 0x3
	global_load_dwordx4 v[4:7], v[14:15], off
	global_load_dwordx4 v[0:3], v[20:21], off
	global_load_dword v79, v[14:15], off offset:16
	global_load_dword v80, v[20:21], off offset:16
	v_mov_b32_e32 v10, 0xe38f
	v_add_co_u32 v21, null, 0x1e6, v56
	v_add_co_u32 v20, null, 0x2d9, v56
	v_mul_lo_u16 v11, v9, 57
	v_mul_u32_u24_sdwa v12, v19, v10 dst_sel:DWORD dst_unused:UNUSED_PAD src0_sel:WORD_0 src1_sel:DWORD
	v_mul_u32_u24_sdwa v13, v21, v10 dst_sel:DWORD dst_unused:UNUSED_PAD src0_sel:WORD_0 src1_sel:DWORD
	;; [unrolled: 1-line block ×3, first 2 shown]
	v_mul_lo_u16 v9, v9, 19
	v_lshrrev_b16 v62, 11, v11
	v_lshrrev_b32_e32 v63, 21, v12
	v_lshrrev_b32_e32 v64, 21, v13
	;; [unrolled: 1-line block ×3, first 2 shown]
	v_mov_b32_e32 v11, 36
	v_mul_lo_u16 v10, v62, 36
	v_mul_lo_u16 v12, v63, 36
	;; [unrolled: 1-line block ×4, first 2 shown]
	v_mul_u32_u24_sdwa v11, v16, v11 dst_sel:DWORD dst_unused:UNUSED_PAD src0_sel:WORD_0 src1_sel:DWORD
	v_sub_nc_u16 v10, v17, v10
	v_sub_nc_u16 v66, v19, v12
	;; [unrolled: 1-line block ×4, first 2 shown]
	v_add_lshl_u32 v77, v11, v24, 2
	v_and_b32_e32 v71, 0xff, v10
	v_mad_u16 v10, v23, 36, v29
	v_lshlrev_b16 v11, 3, v66
	v_lshlrev_b16 v12, 3, v69
	;; [unrolled: 1-line block ×3, first 2 shown]
	v_lshlrev_b32_e32 v16, 3, v71
	v_lshlrev_b32_sdwa v78, v18, v10 dst_sel:DWORD dst_unused:UNUSED_PAD src0_sel:DWORD src1_sel:WORD_0
	v_and_b32_e32 v23, 0xffff, v11
	v_and_b32_e32 v33, 0xffff, v12
	;; [unrolled: 1-line block ×3, first 2 shown]
	ds_read2_b32 v[10:11], v59 offset0:6 offset1:249
	ds_read2_b32 v[12:13], v60 offset0:12 offset1:255
	;; [unrolled: 1-line block ×5, first 2 shown]
	ds_read2_b32 v[31:32], v45 offset1:243
	v_add_co_u32 v23, s0, s2, v23
	v_add_co_ci_u32_e64 v24, null, s3, 0, s0
	v_add_co_u32 v33, s0, s2, v33
	v_add_co_ci_u32_e64 v34, null, s3, 0, s0
	;; [unrolled: 2-line block ×3, first 2 shown]
	s_waitcnt vmcnt(0) lgkmcnt(0)
	s_barrier
	buffer_gl0_inv
	v_lshrrev_b32_e32 v37, 16, v10
	v_lshrrev_b32_e32 v39, 16, v12
	;; [unrolled: 1-line block ×12, first 2 shown]
	v_mul_f16_sdwa v84, v37, v4 dst_sel:DWORD dst_unused:UNUSED_PAD src0_sel:DWORD src1_sel:WORD_1
	v_mul_f16_sdwa v86, v10, v4 dst_sel:DWORD dst_unused:UNUSED_PAD src0_sel:DWORD src1_sel:WORD_1
	;; [unrolled: 1-line block ×20, first 2 shown]
	v_fma_f16 v10, v10, v4, -v84
	v_fma_f16 v12, v12, v5, -v87
	v_fma_f16 v13, v13, v1, -v88
	v_fma_f16 v14, v14, v6, -v92
	v_fma_f16 v15, v15, v2, -v93
	v_fma_f16 v28, v28, v3, -v97
	v_fma_f16 v29, v29, v79, -v99
	v_fma_f16 v30, v30, v80, -v100
	v_fmac_f16_e32 v86, v37, v4
	v_fmac_f16_e32 v90, v39, v5
	;; [unrolled: 1-line block ×5, first 2 shown]
	v_fma_f16 v11, v11, v0, -v85
	v_fmac_f16_e32 v89, v38, v0
	v_fmac_f16_e32 v91, v40, v1
	;; [unrolled: 1-line block ×4, first 2 shown]
	v_fma_f16 v27, v27, v7, -v96
	v_fmac_f16_e32 v101, v73, v3
	v_add_f16_e32 v37, v13, v28
	v_add_f16_e32 v39, v15, v30
	;; [unrolled: 1-line block ×4, first 2 shown]
	v_sub_f16_e32 v75, v90, v98
	v_add_f16_e32 v84, v90, v98
	v_add_f16_e32 v85, v10, v14
	;; [unrolled: 1-line block ×11, first 2 shown]
	v_sub_f16_e32 v12, v12, v27
	v_sub_f16_e32 v14, v14, v29
	;; [unrolled: 1-line block ×4, first 2 shown]
	v_add_f16_e32 v91, v91, v101
	v_sub_f16_e32 v95, v95, v103
	v_fmac_f16_e32 v32, -0.5, v37
	v_fmac_f16_e32 v11, -0.5, v39
	v_add_f16_e32 v27, v73, v27
	v_add_f16_e32 v37, v74, v98
	;; [unrolled: 1-line block ×4, first 2 shown]
	v_fmac_f16_e32 v83, -0.5, v84
	v_fmac_f16_e32 v10, -0.5, v87
	;; [unrolled: 1-line block ×3, first 2 shown]
	v_sub_f16_e32 v15, v15, v30
	v_sub_f16_e32 v13, v13, v28
	v_fmac_f16_e32 v89, -0.5, v41
	v_add_f16_e32 v41, v93, v101
	v_add_f16_e32 v30, v40, v30
	;; [unrolled: 1-line block ×4, first 2 shown]
	v_fmac_f16_e32 v76, -0.5, v91
	v_fmamk_f16 v42, v95, 0x3aee, v11
	v_fmac_f16_e32 v11, 0xbaee, v95
	v_fmamk_f16 v73, v92, 0x3aee, v10
	v_fmamk_f16 v74, v12, 0xbaee, v83
	v_fmac_f16_e32 v83, 0x3aee, v12
	v_fmamk_f16 v12, v14, 0xbaee, v86
	v_fmac_f16_e32 v86, 0x3aee, v14
	v_add_f16_e32 v14, v27, v29
	v_sub_f16_e32 v27, v27, v29
	v_add_f16_e32 v29, v37, v39
	v_sub_f16_e32 v37, v37, v39
	v_fmac_f16_e32 v10, 0xbaee, v92
	v_add_f16_e32 v39, v28, v30
	v_sub_f16_e32 v28, v28, v30
	v_add_f16_e32 v30, v41, v40
	v_sub_f16_e32 v40, v41, v40
	v_fma_f16 v31, -0.5, v72, v31
	v_fmamk_f16 v72, v15, 0xbaee, v89
	v_fmac_f16_e32 v89, 0x3aee, v15
	v_fmamk_f16 v41, v13, 0xbaee, v76
	v_fmac_f16_e32 v76, 0x3aee, v13
	v_pack_b32_f16 v13, v14, v29
	v_mul_f16_e32 v14, -0.5, v11
	v_pack_b32_f16 v27, v27, v37
	v_mul_f16_e32 v29, 0x3aee, v12
	v_mul_f16_e32 v37, 0xbaee, v73
	v_pack_b32_f16 v30, v39, v30
	v_pack_b32_f16 v28, v28, v40
	v_mul_f16_e32 v39, -0.5, v10
	v_mul_f16_e32 v40, -0.5, v86
	v_fmamk_f16 v15, v75, 0x3aee, v31
	v_fmac_f16_e32 v31, 0xbaee, v75
	v_mul_f16_e32 v75, 0x3aee, v72
	v_mul_f16_e32 v84, 0xbaee, v42
	v_mul_f16_e32 v85, -0.5, v89
	v_fmamk_f16 v38, v94, 0x3aee, v32
	v_fmac_f16_e32 v32, 0xbaee, v94
	v_fmac_f16_e32 v29, 0.5, v73
	v_fmac_f16_e32 v37, 0.5, v12
	v_fmac_f16_e32 v14, 0x3aee, v89
	v_fmac_f16_e32 v39, 0x3aee, v86
	;; [unrolled: 1-line block ×3, first 2 shown]
	v_fmac_f16_e32 v75, 0.5, v42
	v_fmac_f16_e32 v84, 0.5, v72
	v_fmac_f16_e32 v85, 0xbaee, v11
	v_add_f16_e32 v10, v32, v14
	v_sub_f16_e32 v11, v32, v14
	v_add_f16_e32 v12, v15, v29
	v_add_f16_e32 v14, v74, v37
	;; [unrolled: 1-line block ×4, first 2 shown]
	v_sub_f16_e32 v15, v15, v29
	v_sub_f16_e32 v29, v31, v39
	;; [unrolled: 1-line block ×4, first 2 shown]
	v_add_f16_e32 v39, v38, v75
	v_add_f16_e32 v40, v41, v84
	;; [unrolled: 1-line block ×3, first 2 shown]
	v_sub_f16_e32 v38, v38, v75
	v_sub_f16_e32 v41, v41, v84
	;; [unrolled: 1-line block ×3, first 2 shown]
	v_pack_b32_f16 v12, v12, v14
	v_pack_b32_f16 v14, v32, v42
	;; [unrolled: 1-line block ×8, first 2 shown]
	ds_write2_b32 v77, v13, v12 offset1:6
	ds_write2_b32 v77, v14, v27 offset0:12 offset1:18
	ds_write2_b32 v77, v15, v29 offset0:24 offset1:30
	ds_write2_b32 v78, v30, v31 offset1:6
	ds_write2_b32 v78, v10, v28 offset0:12 offset1:18
	ds_write2_b32 v78, v32, v11 offset0:24 offset1:30
	s_waitcnt lgkmcnt(0)
	s_barrier
	buffer_gl0_inv
	s_clause 0x3
	global_load_dwordx2 v[37:38], v[33:34], off offset:120
	global_load_dwordx2 v[35:36], v[35:36], off offset:120
	global_load_dwordx2 v[41:42], v16, s[2:3] offset:120
	global_load_dwordx2 v[39:40], v[23:24], off offset:120
	v_mov_b32_e32 v10, 0x4bdb
	v_lshrrev_b16 v11, 2, v19
	v_lshrrev_b16 v13, 2, v20
	;; [unrolled: 1-line block ×4, first 2 shown]
	v_mov_b32_e32 v16, 0x6c
	v_mul_u32_u24_sdwa v11, v11, v10 dst_sel:DWORD dst_unused:UNUSED_PAD src0_sel:WORD_0 src1_sel:DWORD
	v_mul_u32_u24_sdwa v13, v13, v10 dst_sel:DWORD dst_unused:UNUSED_PAD src0_sel:WORD_0 src1_sel:DWORD
	v_mul_lo_u16 v14, 0x6c, v12
	v_mul_u32_u24_sdwa v15, v9, v10 dst_sel:DWORD dst_unused:UNUSED_PAD src0_sel:WORD_0 src1_sel:DWORD
	v_mad_u16 v24, 0x6c, v63, v66
	v_lshrrev_b32_e32 v9, 19, v11
	v_lshrrev_b32_e32 v11, 19, v13
	v_mul_u32_u24_sdwa v13, v62, v16 dst_sel:DWORD dst_unused:UNUSED_PAD src0_sel:WORD_0 src1_sel:DWORD
	v_lshrrev_b32_e32 v10, 19, v15
	v_mad_u16 v27, 0x6c, v64, v69
	v_mul_lo_u16 v15, 0x6c, v9
	v_mul_lo_u16 v23, 0x6c, v11
	v_sub_nc_u16 v14, v17, v14
	v_add_lshl_u32 v73, v13, v71, 2
	v_mad_u16 v29, 0x6c, v65, v70
	v_sub_nc_u16 v13, v19, v15
	v_sub_nc_u16 v15, v20, v23
	v_lshlrev_b32_sdwa v74, v18, v24 dst_sel:DWORD dst_unused:UNUSED_PAD src0_sel:DWORD src1_sel:WORD_0
	ds_read2_b32 v[23:24], v60 offset0:12 offset1:255
	v_lshlrev_b32_sdwa v75, v18, v27 dst_sel:DWORD dst_unused:UNUSED_PAD src0_sel:DWORD src1_sel:WORD_0
	ds_read2_b32 v[27:28], v57 offset0:8 offset1:251
	v_and_b32_e32 v16, 0xff, v14
	v_mul_lo_u16 v14, 0x6c, v10
	v_lshlrev_b32_sdwa v76, v18, v29 dst_sel:DWORD dst_unused:UNUSED_PAD src0_sel:DWORD src1_sel:WORD_0
	ds_read2_b32 v[29:30], v61 offset0:2 offset1:245
	ds_read2_b32 v[31:32], v58 offset0:6 offset1:249
	v_lshlrev_b16 v62, 3, v13
	v_sub_nc_u16 v14, v21, v14
	ds_read2_b32 v[33:34], v45 offset1:243
	v_lshlrev_b16 v65, 3, v15
	v_lshlrev_b32_e32 v66, 3, v16
	v_and_b32_e32 v69, 0xffff, v62
	v_lshlrev_b16 v64, 3, v14
	ds_read2_b32 v[62:63], v59 offset0:6 offset1:249
	v_and_b32_e32 v71, 0xffff, v65
	s_waitcnt vmcnt(0) lgkmcnt(0)
	s_barrier
	v_and_b32_e32 v70, 0xffff, v64
	v_add_co_u32 v64, s0, s2, v69
	v_lshrrev_b32_e32 v69, 16, v23
	v_lshrrev_b32_e32 v72, 16, v24
	;; [unrolled: 1-line block ×10, first 2 shown]
	v_add_co_ci_u32_e64 v65, null, s3, 0, s0
	buffer_gl0_inv
	v_lshrrev_b32_e32 v92, 16, v62
	v_lshrrev_b32_e32 v91, 16, v63
	v_mad_u16 v11, 0x144, v11, v15
	v_mad_u16 v9, 0x144, v9, v13
	;; [unrolled: 1-line block ×3, first 2 shown]
	v_mul_f16_sdwa v101, v85, v37 dst_sel:DWORD dst_unused:UNUSED_PAD src0_sel:DWORD src1_sel:WORD_1
	v_mul_f16_sdwa v103, v29, v37 dst_sel:DWORD dst_unused:UNUSED_PAD src0_sel:DWORD src1_sel:WORD_1
	;; [unrolled: 1-line block ×12, first 2 shown]
	v_fma_f16 v23, v23, v41, -v93
	v_fma_f16 v24, v24, v39, -v94
	v_mul_f16_sdwa v93, v31, v38 dst_sel:DWORD dst_unused:UNUSED_PAD src0_sel:DWORD src1_sel:WORD_1
	v_mul_f16_sdwa v94, v32, v36 dst_sel:DWORD dst_unused:UNUSED_PAD src0_sel:DWORD src1_sel:WORD_1
	v_fma_f16 v28, v28, v40, -v98
	v_fmac_f16_e32 v96, v72, v39
	v_fmac_f16_e32 v100, v84, v40
	v_mul_f16_sdwa v102, v86, v35 dst_sel:DWORD dst_unused:UNUSED_PAD src0_sel:DWORD src1_sel:WORD_1
	v_mul_f16_sdwa v106, v88, v36 dst_sel:DWORD dst_unused:UNUSED_PAD src0_sel:DWORD src1_sel:WORD_1
	v_fma_f16 v27, v27, v42, -v97
	v_fmac_f16_e32 v95, v69, v41
	v_fmac_f16_e32 v99, v83, v42
	v_fma_f16 v29, v29, v37, -v101
	v_fma_f16 v31, v31, v38, -v105
	v_fmac_f16_e32 v103, v85, v37
	v_fmac_f16_e32 v93, v87, v38
	;; [unrolled: 1-line block ×4, first 2 shown]
	v_add_f16_e32 v69, v24, v28
	v_add_f16_e32 v83, v96, v100
	v_fma_f16 v30, v30, v35, -v102
	v_fma_f16 v32, v32, v36, -v106
	v_add_f16_e32 v84, v89, v96
	v_sub_f16_e32 v85, v96, v100
	v_add_f16_e32 v86, v23, v27
	v_add_f16_e32 v87, v90, v95
	v_add_f16_e32 v88, v33, v23
	v_add_f16_e32 v96, v95, v99
	v_add_f16_e32 v72, v34, v24
	v_add_f16_e32 v101, v104, v94
	v_add_f16_e32 v105, v92, v103
	v_add_f16_e32 v106, v62, v29
	v_fmac_f16_e32 v34, -0.5, v69
	v_add_f16_e32 v69, v103, v93
	v_fmac_f16_e32 v89, -0.5, v83
	v_add_f16_e32 v83, v29, v31
	v_sub_f16_e32 v24, v24, v28
	v_sub_f16_e32 v95, v95, v99
	;; [unrolled: 1-line block ×3, first 2 shown]
	v_add_f16_e32 v97, v30, v32
	v_fma_f16 v33, -0.5, v86, v33
	v_add_f16_e32 v86, v87, v99
	v_add_f16_e32 v27, v88, v27
	v_fmac_f16_e32 v90, -0.5, v96
	v_add_f16_e32 v98, v63, v30
	v_add_f16_e32 v102, v91, v104
	v_sub_f16_e32 v103, v103, v93
	v_sub_f16_e32 v29, v29, v31
	;; [unrolled: 1-line block ×3, first 2 shown]
	v_add_f16_e32 v28, v72, v28
	v_add_f16_e32 v72, v84, v100
	v_fmac_f16_e32 v91, -0.5, v101
	v_add_f16_e32 v84, v105, v93
	v_add_f16_e32 v31, v106, v31
	v_fmac_f16_e32 v92, -0.5, v69
	v_fma_f16 v62, -0.5, v83, v62
	v_sub_f16_e32 v104, v104, v94
	v_fmac_f16_e32 v63, -0.5, v97
	v_fmamk_f16 v83, v85, 0x3aee, v34
	v_fmac_f16_e32 v34, 0xbaee, v85
	v_fmamk_f16 v85, v24, 0xbaee, v89
	v_fmac_f16_e32 v89, 0x3aee, v24
	v_pack_b32_f16 v24, v27, v86
	v_fmamk_f16 v27, v95, 0x3aee, v33
	v_fmamk_f16 v86, v23, 0xbaee, v90
	v_fmac_f16_e32 v33, 0xbaee, v95
	v_fmac_f16_e32 v90, 0x3aee, v23
	v_add_f16_e32 v32, v98, v32
	v_add_f16_e32 v69, v102, v94
	v_pack_b32_f16 v23, v28, v72
	v_fmamk_f16 v72, v30, 0xbaee, v91
	v_fmac_f16_e32 v91, 0x3aee, v30
	v_pack_b32_f16 v30, v31, v84
	v_fmamk_f16 v31, v103, 0x3aee, v62
	v_fmamk_f16 v84, v29, 0xbaee, v92
	;; [unrolled: 1-line block ×3, first 2 shown]
	v_fmac_f16_e32 v63, 0xbaee, v104
	v_fmac_f16_e32 v62, 0xbaee, v103
	;; [unrolled: 1-line block ×3, first 2 shown]
	v_pack_b32_f16 v27, v27, v86
	v_pack_b32_f16 v33, v33, v90
	;; [unrolled: 1-line block ×9, first 2 shown]
	ds_write2_b32 v73, v24, v27 offset1:36
	ds_write_b32 v73, v33 offset:288
	ds_write2_b32 v74, v23, v34 offset1:36
	ds_write_b32 v74, v32 offset:288
	;; [unrolled: 2-line block ×4, first 2 shown]
	v_add_co_u32 v23, s0, s2, v70
	v_add_co_ci_u32_e64 v24, null, s3, 0, s0
	v_add_co_u32 v31, s0, s2, v71
	s_waitcnt lgkmcnt(0)
	s_barrier
	buffer_gl0_inv
	s_clause 0x1
	global_load_dwordx2 v[29:30], v66, s[2:3] offset:408
	global_load_dwordx2 v[27:28], v[64:65], off offset:408
	v_add_co_ci_u32_e64 v32, null, s3, 0, s0
	s_clause 0x1
	global_load_dwordx2 v[33:34], v[23:24], off offset:408
	global_load_dwordx2 v[31:32], v[31:32], off offset:408
	v_mov_b32_e32 v24, 0x6523
	v_add_co_u32 v23, s0, 0xffffffaf, v56
	v_add_co_ci_u32_e64 v62, null, 0, -1, s0
	v_mul_u32_u24_sdwa v64, v20, v24 dst_sel:DWORD dst_unused:UNUSED_PAD src0_sel:WORD_0 src1_sel:DWORD
	v_mul_u32_u24_sdwa v63, v21, v24 dst_sel:DWORD dst_unused:UNUSED_PAD src0_sel:WORD_0 src1_sel:DWORD
	ds_read2_b32 v[83:84], v57 offset0:8 offset1:251
	v_cndmask_b32_e32 v24, v62, v22, vcc_lo
	v_mov_b32_e32 v22, 0x144
	v_lshrrev_b32_e32 v64, 23, v64
	v_lshrrev_b32_e32 v89, 23, v63
	ds_read2_b32 v[85:86], v61 offset0:2 offset1:245
	ds_read2_b32 v[87:88], v58 offset0:6 offset1:249
	v_mul_u32_u24_sdwa v12, v12, v22 dst_sel:DWORD dst_unused:UNUSED_PAD src0_sel:WORD_0 src1_sel:DWORD
	v_mul_lo_u16 v64, 0x144, v64
	v_mul_lo_u16 v22, 0x144, v89
	v_lshlrev_b32_sdwa v70, v18, v11 dst_sel:DWORD dst_unused:UNUSED_PAD src0_sel:DWORD src1_sel:WORD_0
	v_lshlrev_b32_sdwa v72, v18, v9 dst_sel:DWORD dst_unused:UNUSED_PAD src0_sel:DWORD src1_sel:WORD_0
	v_add_lshl_u32 v69, v12, v16, 2
	v_sub_nc_u16 v91, v20, v64
	ds_read2_b32 v[64:65], v60 offset0:12 offset1:255
	v_sub_nc_u16 v90, v21, v22
	ds_read2_b32 v[12:13], v45 offset1:243
	v_lshlrev_b32_sdwa v71, v18, v10 dst_sel:DWORD dst_unused:UNUSED_PAD src0_sel:DWORD src1_sel:WORD_0
	v_lshlrev_b16 v22, 3, v91
	ds_read2_b32 v[9:10], v59 offset0:6 offset1:249
	v_lshlrev_b16 v16, 3, v90
	s_waitcnt lgkmcnt(5)
	v_lshrrev_b32_e32 v66, 16, v84
	v_cndmask_b32_e32 v23, v23, v19, vcc_lo
	v_and_b32_e32 v15, 0xffff, v22
	v_lshrrev_b32_e32 v22, 16, v83
	v_and_b32_e32 v14, 0xffff, v16
	s_waitcnt lgkmcnt(4)
	v_lshrrev_b32_e32 v92, 16, v85
	v_lshrrev_b32_e32 v93, 16, v86
	s_waitcnt lgkmcnt(3)
	v_lshrrev_b32_e32 v94, 16, v87
	v_lshrrev_b32_e32 v95, 16, v88
	v_lshlrev_b64 v[62:63], 3, v[23:24]
	v_lshlrev_b32_e32 v24, 3, v56
	s_waitcnt vmcnt(0) lgkmcnt(0)
	s_barrier
	v_lshrrev_b32_e32 v11, 16, v64
	v_lshrrev_b32_e32 v16, 16, v65
	;; [unrolled: 1-line block ×3, first 2 shown]
	v_add_co_u32 v62, vcc_lo, s2, v62
	v_add_co_ci_u32_e32 v63, vcc_lo, s3, v63, vcc_lo
	buffer_gl0_inv
	v_cmp_lt_u16_e32 vcc_lo, 0x50, v17
	v_lshlrev_b32_e32 v19, 3, v19
	v_lshlrev_b32_e32 v20, 3, v20
	v_cndmask_b32_e64 v17, 0, 0x3cc, vcc_lo
	v_mul_f16_sdwa v97, v11, v29 dst_sel:DWORD dst_unused:UNUSED_PAD src0_sel:DWORD src1_sel:WORD_1
	v_mul_f16_sdwa v100, v22, v30 dst_sel:DWORD dst_unused:UNUSED_PAD src0_sel:DWORD src1_sel:WORD_1
	;; [unrolled: 1-line block ×9, first 2 shown]
	v_fma_f16 v64, v64, v29, -v97
	v_mul_f16_sdwa v97, v93, v31 dst_sel:DWORD dst_unused:UNUSED_PAD src0_sel:DWORD src1_sel:WORD_1
	v_fma_f16 v83, v83, v30, -v100
	v_fma_f16 v84, v84, v28, -v101
	v_mul_f16_sdwa v100, v94, v34 dst_sel:DWORD dst_unused:UNUSED_PAD src0_sel:DWORD src1_sel:WORD_1
	v_mul_f16_sdwa v101, v95, v32 dst_sel:DWORD dst_unused:UNUSED_PAD src0_sel:DWORD src1_sel:WORD_1
	v_fma_f16 v65, v65, v27, -v98
	v_mul_f16_sdwa v98, v85, v33 dst_sel:DWORD dst_unused:UNUSED_PAD src0_sel:DWORD src1_sel:WORD_1
	v_fma_f16 v85, v85, v33, -v105
	v_fma_f16 v97, v86, v31, -v97
	v_mul_f16_sdwa v86, v86, v31 dst_sel:DWORD dst_unused:UNUSED_PAD src0_sel:DWORD src1_sel:WORD_1
	v_mul_f16_sdwa v105, v87, v34 dst_sel:DWORD dst_unused:UNUSED_PAD src0_sel:DWORD src1_sel:WORD_1
	v_fma_f16 v87, v87, v34, -v100
	v_fma_f16 v100, v88, v32, -v101
	v_mul_f16_sdwa v88, v88, v32 dst_sel:DWORD dst_unused:UNUSED_PAD src0_sel:DWORD src1_sel:WORD_1
	v_fmac_f16_e32 v102, v16, v27
	v_fmac_f16_e32 v104, v66, v28
	v_lshrrev_b32_e32 v101, 16, v12
	v_fmac_f16_e32 v99, v11, v29
	v_fmac_f16_e32 v86, v93, v31
	;; [unrolled: 1-line block ×3, first 2 shown]
	v_add_f16_e32 v16, v65, v84
	v_add_f16_e32 v66, v102, v104
	v_lshrrev_b32_e32 v11, 16, v10
	v_fmac_f16_e32 v103, v22, v30
	v_fmac_f16_e32 v98, v92, v33
	;; [unrolled: 1-line block ×3, first 2 shown]
	v_add_f16_e32 v22, v13, v65
	v_add_f16_e32 v92, v96, v102
	;; [unrolled: 1-line block ×4, first 2 shown]
	v_fmac_f16_e32 v13, -0.5, v16
	v_add_f16_e32 v16, v86, v88
	v_fmac_f16_e32 v96, -0.5, v66
	v_add_f16_e32 v66, v101, v99
	v_add_f16_e32 v95, v10, v97
	v_fmac_f16_e32 v10, -0.5, v94
	v_add_f16_e32 v94, v11, v86
	v_fmac_f16_e32 v11, -0.5, v16
	v_add_f16_e32 v16, v99, v103
	v_sub_f16_e32 v99, v99, v103
	v_add_f16_e32 v66, v66, v103
	v_add_f16_e32 v103, v64, v83
	v_sub_f16_e32 v64, v64, v83
	v_add_f16_e32 v83, v93, v83
	v_lshrrev_b32_e32 v93, 16, v9
	v_fmac_f16_e32 v101, -0.5, v16
	v_sub_f16_e32 v102, v102, v104
	v_sub_f16_e32 v65, v65, v84
	v_add_f16_e32 v22, v22, v84
	v_add_f16_e32 v16, v93, v98
	;; [unrolled: 1-line block ×5, first 2 shown]
	v_sub_f16_e32 v98, v98, v105
	v_add_f16_e32 v16, v16, v105
	v_add_f16_e32 v105, v9, v85
	v_sub_f16_e32 v86, v86, v88
	v_sub_f16_e32 v97, v97, v100
	v_fma_f16 v12, -0.5, v103, v12
	v_sub_f16_e32 v85, v85, v87
	v_fma_f16 v9, -0.5, v84, v9
	v_add_f16_e32 v84, v105, v87
	v_fmac_f16_e32 v93, -0.5, v104
	v_add_f16_e32 v87, v95, v100
	v_fmamk_f16 v95, v65, 0xbaee, v96
	v_fmac_f16_e32 v96, 0x3aee, v65
	v_fmamk_f16 v65, v86, 0x3aee, v10
	v_fmac_f16_e32 v10, 0xbaee, v86
	;; [unrolled: 2-line block ×3, first 2 shown]
	v_pack_b32_f16 v66, v83, v66
	v_fmamk_f16 v83, v99, 0x3aee, v12
	v_fmamk_f16 v97, v64, 0xbaee, v101
	v_fmac_f16_e32 v12, 0xbaee, v99
	v_fmac_f16_e32 v101, 0x3aee, v64
	v_add_f16_e32 v88, v94, v88
	v_fmamk_f16 v94, v102, 0x3aee, v13
	v_fmac_f16_e32 v13, 0xbaee, v102
	v_pack_b32_f16 v16, v84, v16
	v_fmamk_f16 v64, v98, 0x3aee, v9
	v_fmamk_f16 v84, v85, 0xbaee, v93
	v_fmac_f16_e32 v9, 0xbaee, v98
	v_fmac_f16_e32 v93, 0x3aee, v85
	v_pack_b32_f16 v10, v10, v11
	v_pack_b32_f16 v11, v83, v97
	;; [unrolled: 1-line block ×10, first 2 shown]
	ds_write2_b32 v69, v66, v11 offset1:108
	ds_write_b32 v69, v12 offset:864
	ds_write2_b32 v72, v22, v83 offset1:108
	ds_write_b32 v72, v13 offset:864
	;; [unrolled: 2-line block ×4, first 2 shown]
	v_add_co_u32 v13, s0, s2, v14
	s_waitcnt lgkmcnt(0)
	s_barrier
	buffer_gl0_inv
	s_clause 0x1
	global_load_dwordx2 v[11:12], v24, s[2:3] offset:1272
	global_load_dwordx2 v[9:10], v[62:63], off offset:1272
	v_add_co_ci_u32_e64 v14, null, s3, 0, s0
	v_add_co_u32 v62, s0, s2, v15
	v_add_co_ci_u32_e64 v63, null, s3, 0, s0
	s_clause 0x1
	global_load_dwordx2 v[15:16], v[13:14], off offset:1272
	global_load_dwordx2 v[13:14], v[62:63], off offset:1272
	v_add_co_u32 v22, s0, s2, v24
	v_add_co_ci_u32_e64 v24, null, s3, 0, s0
	v_lshlrev_b32_e32 v63, 3, v21
	v_add_co_u32 v21, vcc_lo, 0x800, v22
	v_add_lshl_u32 v62, v23, v17, 2
	v_add_co_ci_u32_e32 v22, vcc_lo, 0, v24, vcc_lo
	ds_read2_b32 v[23:24], v60 offset0:12 offset1:255
	ds_read2_b32 v[65:66], v57 offset0:8 offset1:251
	ds_read2_b32 v[83:84], v61 offset0:2 offset1:245
	ds_read2_b32 v[85:86], v58 offset0:6 offset1:249
	v_add_co_u32 v17, s0, s2, v19
	v_add_co_ci_u32_e64 v19, null, s3, 0, s0
	v_add_co_u32 v63, s0, s2, v63
	v_add_co_u32 v87, vcc_lo, 0x800, v17
	v_add_co_ci_u32_e32 v88, vcc_lo, 0, v19, vcc_lo
	v_mad_u16 v17, 0x3cc, v89, v90
	v_add_co_u32 v89, vcc_lo, 0x800, v63
	v_lshlrev_b32_sdwa v63, v18, v91 dst_sel:DWORD dst_unused:UNUSED_PAD src0_sel:DWORD src1_sel:WORD_0
	v_add_co_ci_u32_e64 v64, null, s3, 0, s0
	s_waitcnt lgkmcnt(3)
	v_lshrrev_b32_e32 v19, 16, v23
	v_lshrrev_b32_e32 v91, 16, v24
	s_waitcnt lgkmcnt(2)
	v_lshrrev_b32_e32 v93, 16, v66
	s_waitcnt lgkmcnt(1)
	v_lshrrev_b32_e32 v94, 16, v83
	v_lshrrev_b32_e32 v95, 16, v84
	s_waitcnt lgkmcnt(0)
	v_lshrrev_b32_e32 v96, 16, v85
	v_lshrrev_b32_e32 v92, 16, v65
	v_add_co_ci_u32_e32 v90, vcc_lo, 0, v64, vcc_lo
	v_lshlrev_b32_sdwa v64, v18, v17 dst_sel:DWORD dst_unused:UNUSED_PAD src0_sel:DWORD src1_sel:WORD_0
	ds_read2_b32 v[17:18], v45 offset1:243
	v_lshrrev_b32_e32 v97, 16, v86
	v_add_co_u32 v20, s0, s2, v20
	s_mul_i32 s2, s49, 0x798
	s_waitcnt vmcnt(3)
	v_mul_f16_sdwa v98, v19, v11 dst_sel:DWORD dst_unused:UNUSED_PAD src0_sel:DWORD src1_sel:WORD_1
	s_waitcnt vmcnt(2)
	v_mul_f16_sdwa v99, v91, v9 dst_sel:DWORD dst_unused:UNUSED_PAD src0_sel:DWORD src1_sel:WORD_1
	v_mul_f16_sdwa v100, v23, v11 dst_sel:DWORD dst_unused:UNUSED_PAD src0_sel:DWORD src1_sel:WORD_1
	;; [unrolled: 1-line block ×4, first 2 shown]
	v_fma_f16 v98, v23, v11, -v98
	v_fma_f16 v99, v24, v9, -v99
	v_mul_f16_sdwa v102, v92, v12 dst_sel:DWORD dst_unused:UNUSED_PAD src0_sel:DWORD src1_sel:WORD_1
	v_mul_f16_sdwa v105, v66, v10 dst_sel:DWORD dst_unused:UNUSED_PAD src0_sel:DWORD src1_sel:WORD_1
	s_waitcnt vmcnt(1)
	v_mul_f16_sdwa v106, v94, v15 dst_sel:DWORD dst_unused:UNUSED_PAD src0_sel:DWORD src1_sel:WORD_1
	s_waitcnt vmcnt(0)
	v_mul_f16_sdwa v23, v95, v13 dst_sel:DWORD dst_unused:UNUSED_PAD src0_sel:DWORD src1_sel:WORD_1
	v_mul_f16_sdwa v24, v96, v16 dst_sel:DWORD dst_unused:UNUSED_PAD src0_sel:DWORD src1_sel:WORD_1
	;; [unrolled: 1-line block ×3, first 2 shown]
	v_fma_f16 v66, v66, v10, -v103
	v_fma_f16 v83, v83, v15, -v106
	;; [unrolled: 1-line block ×3, first 2 shown]
	v_mul_f16_sdwa v106, v85, v16 dst_sel:DWORD dst_unused:UNUSED_PAD src0_sel:DWORD src1_sel:WORD_1
	v_fma_f16 v85, v85, v16, -v24
	ds_read2_b32 v[23:24], v59 offset0:6 offset1:249
	v_mul_f16_sdwa v104, v65, v12 dst_sel:DWORD dst_unused:UNUSED_PAD src0_sel:DWORD src1_sel:WORD_1
	v_fma_f16 v65, v65, v12, -v102
	v_mul_f16_sdwa v102, v97, v14 dst_sel:DWORD dst_unused:UNUSED_PAD src0_sel:DWORD src1_sel:WORD_1
	v_mul_f16_sdwa v84, v84, v13 dst_sel:DWORD dst_unused:UNUSED_PAD src0_sel:DWORD src1_sel:WORD_1
	v_fmac_f16_e32 v101, v91, v9
	v_fmac_f16_e32 v104, v92, v12
	v_fmac_f16_e32 v105, v93, v10
	v_fma_f16 v102, v86, v14, -v102
	v_mul_f16_sdwa v86, v86, v14 dst_sel:DWORD dst_unused:UNUSED_PAD src0_sel:DWORD src1_sel:WORD_1
	v_fmac_f16_e32 v84, v95, v13
	v_add_f16_e32 v92, v99, v66
	v_fmac_f16_e32 v100, v19, v11
	s_waitcnt lgkmcnt(1)
	v_lshrrev_b32_e32 v19, 16, v18
	v_fmac_f16_e32 v86, v97, v14
	v_fmac_f16_e32 v107, v94, v15
	;; [unrolled: 1-line block ×3, first 2 shown]
	v_add_f16_e32 v93, v18, v99
	v_add_f16_e32 v94, v101, v105
	;; [unrolled: 1-line block ×3, first 2 shown]
	s_waitcnt lgkmcnt(0)
	v_lshrrev_b32_e32 v91, 16, v24
	v_fmac_f16_e32 v18, -0.5, v92
	v_add_f16_e32 v92, v84, v86
	v_add_f16_e32 v95, v19, v101
	v_fmac_f16_e32 v19, -0.5, v94
	v_add_f16_e32 v94, v24, v103
	v_fmac_f16_e32 v24, -0.5, v96
	;; [unrolled: 2-line block ×3, first 2 shown]
	v_add_f16_e32 v92, v17, v98
	v_add_f16_e32 v97, v98, v65
	v_sub_f16_e32 v98, v98, v65
	v_add_f16_e32 v109, v100, v104
	v_sub_f16_e32 v99, v99, v66
	v_add_f16_e32 v65, v92, v65
	v_lshrrev_b32_e32 v92, 16, v17
	v_add_f16_e32 v66, v93, v66
	v_sub_f16_e32 v93, v101, v105
	v_add_f16_e32 v101, v23, v83
	v_add_f16_e32 v95, v95, v105
	;; [unrolled: 1-line block ×3, first 2 shown]
	v_sub_f16_e32 v100, v100, v104
	v_fmac_f16_e32 v92, -0.5, v109
	v_add_f16_e32 v105, v83, v85
	v_sub_f16_e32 v83, v83, v85
	v_add_f16_e32 v85, v101, v85
	v_lshrrev_b32_e32 v101, 16, v23
	v_add_f16_e32 v109, v107, v106
	v_sub_f16_e32 v103, v103, v102
	v_sub_f16_e32 v84, v84, v86
	v_fma_f16 v17, -0.5, v97, v17
	v_add_f16_e32 v104, v108, v104
	v_add_f16_e32 v108, v101, v107
	v_sub_f16_e32 v107, v107, v106
	v_fmac_f16_e32 v101, -0.5, v109
	v_fma_f16 v23, -0.5, v105, v23
	v_add_f16_e32 v86, v96, v86
	v_fmamk_f16 v96, v93, 0x3aee, v18
	v_fmac_f16_e32 v18, 0xbaee, v93
	v_fmamk_f16 v93, v99, 0xbaee, v19
	v_fmac_f16_e32 v19, 0x3aee, v99
	;; [unrolled: 2-line block ×6, first 2 shown]
	v_pack_b32_f16 v65, v65, v104
	v_add_f16_e32 v106, v108, v106
	v_add_f16_e32 v94, v94, v102
	v_fmamk_f16 v98, v107, 0x3aee, v23
	v_fmac_f16_e32 v23, 0xbaee, v107
	v_fmamk_f16 v102, v83, 0xbaee, v101
	v_fmac_f16_e32 v101, 0x3aee, v83
	v_pack_b32_f16 v18, v18, v19
	v_pack_b32_f16 v19, v24, v91
	;; [unrolled: 1-line block ×4, first 2 shown]
	v_add_co_ci_u32_e64 v83, null, s3, 0, s0
	v_pack_b32_f16 v66, v66, v95
	s_barrier
	buffer_gl0_inv
	ds_write_b32 v45, v65
	v_pack_b32_f16 v65, v96, v93
	v_pack_b32_f16 v85, v85, v106
	;; [unrolled: 1-line block ×6, first 2 shown]
	ds_write_b32 v45, v24 offset:1296
	ds_write_b32 v45, v17 offset:2592
	ds_write_b32 v62, v66
	ds_write_b32 v62, v65 offset:1296
	ds_write_b32 v62, v18 offset:2592
	ds_write_b32 v64, v85
	ds_write_b32 v64, v91 offset:1296
	ds_write_b32 v64, v23 offset:2592
	ds_write_b32 v63, v86 offset:7776
	ds_write_b32 v63, v84 offset:9072
	ds_write_b32 v63, v19 offset:10368
	s_waitcnt lgkmcnt(0)
	s_barrier
	buffer_gl0_inv
	s_clause 0x1
	global_load_dwordx2 v[21:22], v[21:22], off offset:1816
	global_load_dwordx2 v[17:18], v[87:88], off offset:1816
	v_add_co_u32 v19, vcc_lo, 0x800, v20
	v_add_co_ci_u32_e32 v20, vcc_lo, 0, v83, vcc_lo
	s_clause 0x1
	global_load_dwordx2 v[23:24], v[89:90], off offset:1816
	global_load_dwordx2 v[19:20], v[19:20], off offset:1816
	ds_read2_b32 v[65:66], v60 offset0:12 offset1:255
	ds_read2_b32 v[83:84], v57 offset0:8 offset1:251
	ds_read2_b32 v[85:86], v45 offset1:243
	ds_read2_b32 v[87:88], v61 offset0:2 offset1:245
	ds_read2_b32 v[89:90], v58 offset0:6 offset1:249
	s_load_dwordx2 s[0:1], s[4:5], 0x38
	s_waitcnt lgkmcnt(0)
	v_lshrrev_b32_e32 v92, 16, v66
	v_lshrrev_b32_e32 v93, 16, v83
	;; [unrolled: 1-line block ×9, first 2 shown]
	s_waitcnt vmcnt(3)
	v_mul_f16_sdwa v104, v93, v22 dst_sel:DWORD dst_unused:UNUSED_PAD src0_sel:DWORD src1_sel:WORD_1
	s_waitcnt vmcnt(2)
	v_mul_f16_sdwa v101, v92, v17 dst_sel:DWORD dst_unused:UNUSED_PAD src0_sel:DWORD src1_sel:WORD_1
	v_mul_f16_sdwa v105, v94, v18 dst_sel:DWORD dst_unused:UNUSED_PAD src0_sel:DWORD src1_sel:WORD_1
	v_mul_f16_sdwa v100, v91, v21 dst_sel:DWORD dst_unused:UNUSED_PAD src0_sel:DWORD src1_sel:WORD_1
	v_mul_f16_sdwa v102, v65, v21 dst_sel:DWORD dst_unused:UNUSED_PAD src0_sel:DWORD src1_sel:WORD_1
	v_mul_f16_sdwa v103, v66, v17 dst_sel:DWORD dst_unused:UNUSED_PAD src0_sel:DWORD src1_sel:WORD_1
	v_mul_f16_sdwa v106, v83, v22 dst_sel:DWORD dst_unused:UNUSED_PAD src0_sel:DWORD src1_sel:WORD_1
	v_fma_f16 v66, v66, v17, -v101
	v_fma_f16 v83, v83, v22, -v104
	v_fma_f16 v104, v84, v18, -v105
	v_mul_f16_sdwa v105, v84, v18 dst_sel:DWORD dst_unused:UNUSED_PAD src0_sel:DWORD src1_sel:WORD_1
	s_waitcnt vmcnt(1)
	v_mul_f16_sdwa v84, v98, v24 dst_sel:DWORD dst_unused:UNUSED_PAD src0_sel:DWORD src1_sel:WORD_1
	v_fma_f16 v65, v65, v21, -v100
	v_mul_f16_sdwa v100, v96, v23 dst_sel:DWORD dst_unused:UNUSED_PAD src0_sel:DWORD src1_sel:WORD_1
	s_waitcnt vmcnt(0)
	v_mul_f16_sdwa v101, v97, v19 dst_sel:DWORD dst_unused:UNUSED_PAD src0_sel:DWORD src1_sel:WORD_1
	v_fmac_f16_e32 v102, v91, v21
	v_fmac_f16_e32 v106, v93, v22
	v_mul_f16_sdwa v91, v99, v20 dst_sel:DWORD dst_unused:UNUSED_PAD src0_sel:DWORD src1_sel:WORD_1
	v_fmac_f16_e32 v103, v92, v17
	v_mul_f16_sdwa v92, v89, v24 dst_sel:DWORD dst_unused:UNUSED_PAD src0_sel:DWORD src1_sel:WORD_1
	v_fmac_f16_e32 v105, v94, v18
	v_fma_f16 v89, v89, v24, -v84
	v_add_f16_e32 v84, v66, v104
	v_mul_f16_sdwa v107, v87, v23 dst_sel:DWORD dst_unused:UNUSED_PAD src0_sel:DWORD src1_sel:WORD_1
	v_fma_f16 v87, v87, v23, -v100
	v_fma_f16 v100, v88, v19, -v101
	v_mul_f16_sdwa v88, v88, v19 dst_sel:DWORD dst_unused:UNUSED_PAD src0_sel:DWORD src1_sel:WORD_1
	v_lshrrev_b32_e32 v101, 16, v85
	v_mul_f16_sdwa v93, v90, v20 dst_sel:DWORD dst_unused:UNUSED_PAD src0_sel:DWORD src1_sel:WORD_1
	v_fma_f16 v90, v90, v20, -v91
	v_fmac_f16_e32 v92, v98, v24
	v_add_f16_e32 v91, v86, v66
	v_add_f16_e32 v94, v103, v105
	v_add_f16_e32 v98, v85, v65
	v_fmac_f16_e32 v86, -0.5, v84
	v_add_f16_e32 v84, v102, v106
	v_fmac_f16_e32 v107, v96, v23
	v_fmac_f16_e32 v88, v97, v19
	v_add_f16_e32 v96, v95, v103
	v_add_f16_e32 v97, v65, v83
	v_sub_f16_e32 v65, v65, v83
	v_fmac_f16_e32 v95, -0.5, v94
	v_add_f16_e32 v94, v101, v102
	v_add_f16_e32 v98, v98, v83
	v_fmac_f16_e32 v101, -0.5, v84
	ds_read2_b32 v[83:84], v59 offset0:6 offset1:249
	v_fmac_f16_e32 v93, v99, v20
	v_sub_f16_e32 v99, v102, v106
	v_add_f16_e32 v102, v100, v90
	v_sub_f16_e32 v66, v66, v104
	v_add_f16_e32 v91, v91, v104
	;; [unrolled: 2-line block ×3, first 2 shown]
	v_add_f16_e32 v94, v94, v106
	v_add_f16_e32 v108, v107, v92
	;; [unrolled: 1-line block ×3, first 2 shown]
	v_fma_f16 v85, -0.5, v97, v85
	v_pack_b32_f16 v91, v91, v96
	v_pack_b32_f16 v94, v98, v94
	v_fmamk_f16 v97, v99, 0x3aee, v85
	v_fmac_f16_e32 v85, 0xbaee, v99
	v_fmamk_f16 v99, v65, 0xbaee, v101
	v_fmac_f16_e32 v101, 0x3aee, v65
	s_waitcnt lgkmcnt(0)
	v_lshrrev_b32_e32 v104, 16, v84
	v_add_f16_e32 v105, v84, v100
	v_fmac_f16_e32 v84, -0.5, v102
	v_add_f16_e32 v102, v88, v93
	v_sub_f16_e32 v100, v100, v90
	v_add_f16_e32 v106, v104, v88
	v_sub_f16_e32 v88, v88, v93
	v_add_f16_e32 v90, v105, v90
	v_fmac_f16_e32 v104, -0.5, v102
	v_lshrrev_b32_e32 v102, 16, v83
	v_add_f16_e32 v93, v106, v93
	v_fmamk_f16 v105, v103, 0x3aee, v86
	v_fmac_f16_e32 v86, 0xbaee, v103
	v_fmamk_f16 v103, v66, 0xbaee, v95
	v_add_f16_e32 v109, v102, v107
	v_fmac_f16_e32 v102, -0.5, v108
	v_add_f16_e32 v108, v83, v87
	v_sub_f16_e32 v87, v87, v89
	v_sub_f16_e32 v107, v107, v92
	v_fma_f16 v83, -0.5, v110, v83
	v_add_f16_e32 v92, v109, v92
	v_add_f16_e32 v89, v108, v89
	v_fmamk_f16 v96, v88, 0x3aee, v84
	v_fmac_f16_e32 v84, 0xbaee, v88
	v_fmamk_f16 v88, v100, 0xbaee, v104
	v_fmac_f16_e32 v104, 0x3aee, v100
	v_fmamk_f16 v98, v107, 0x3aee, v83
	v_fmamk_f16 v100, v87, 0xbaee, v102
	v_fmac_f16_e32 v95, 0x3aee, v66
	v_fmac_f16_e32 v83, 0xbaee, v107
	;; [unrolled: 1-line block ×3, first 2 shown]
	v_pack_b32_f16 v87, v89, v92
	v_pack_b32_f16 v89, v90, v93
	;; [unrolled: 1-line block ×4, first 2 shown]
	v_add_nc_u32_e32 v65, 0x12e0, v45
	v_pack_b32_f16 v92, v105, v103
	v_pack_b32_f16 v93, v98, v100
	v_add_nc_u32_e32 v66, 0x2200, v45
	v_pack_b32_f16 v86, v86, v95
	v_pack_b32_f16 v83, v83, v102
	;; [unrolled: 1-line block ×4, first 2 shown]
	ds_write_b32 v45, v90 offset:3888
	ds_write_b32 v45, v85 offset:7776
	ds_write2_b32 v45, v94, v91 offset1:243
	ds_write2_b32 v65, v92, v93 offset0:7 offset1:250
	ds_write2_b32 v66, v86, v83 offset0:11 offset1:254
	;; [unrolled: 1-line block ×3, first 2 shown]
	ds_write_b32 v45, v88 offset:6804
	ds_write_b32 v45, v84 offset:10692
	s_waitcnt lgkmcnt(0)
	s_barrier
	buffer_gl0_inv
	global_load_dword v87, v[25:26], off offset:1424
	v_add_co_u32 v25, vcc_lo, 0x2d90, v67
	v_add_co_ci_u32_e32 v26, vcc_lo, 0, v68, vcc_lo
	v_add_co_u32 v83, vcc_lo, 0x3800, v67
	v_add_co_ci_u32_e32 v84, vcc_lo, 0, v68, vcc_lo
	s_clause 0x2
	global_load_dword v88, v[25:26], off offset:972
	global_load_dword v89, v[25:26], off offset:1944
	;; [unrolled: 1-line block ×3, first 2 shown]
	v_add_co_u32 v25, vcc_lo, 0x4800, v67
	v_add_co_ci_u32_e32 v26, vcc_lo, 0, v68, vcc_lo
	v_add_co_u32 v85, vcc_lo, 0x4000, v67
	v_add_co_ci_u32_e32 v86, vcc_lo, 0, v68, vcc_lo
	s_clause 0x4
	global_load_dword v91, v[25:26], off offset:36
	global_load_dword v92, v[85:86], off offset:1112
	;; [unrolled: 1-line block ×5, first 2 shown]
	v_add_co_u32 v67, vcc_lo, 0x5000, v67
	v_add_co_ci_u32_e32 v68, vcc_lo, 0, v68, vcc_lo
	s_clause 0x2
	global_load_dword v96, v[25:26], off offset:1980
	global_load_dword v97, v[67:68], off offset:904
	;; [unrolled: 1-line block ×3, first 2 shown]
	ds_read2_b32 v[25:26], v45 offset1:243
	v_add_nc_u32_e32 v99, 0x3c0, v45
	s_waitcnt lgkmcnt(0)
	v_lshrrev_b32_e32 v67, 16, v25
	s_waitcnt vmcnt(11)
	v_mul_f16_sdwa v68, v25, v87 dst_sel:DWORD dst_unused:UNUSED_PAD src0_sel:DWORD src1_sel:WORD_1
	v_mul_f16_sdwa v83, v67, v87 dst_sel:DWORD dst_unused:UNUSED_PAD src0_sel:DWORD src1_sel:WORD_1
	v_fmac_f16_e32 v68, v67, v87
	v_fma_f16 v25, v25, v87, -v83
	s_waitcnt vmcnt(10)
	v_mul_f16_sdwa v86, v26, v88 dst_sel:DWORD dst_unused:UNUSED_PAD src0_sel:DWORD src1_sel:WORD_1
	v_pack_b32_f16 v25, v25, v68
	ds_write_b32 v45, v25
	ds_read2_b32 v[67:68], v59 offset0:6 offset1:249
	v_lshrrev_b32_e32 v25, 16, v26
	ds_read2_b32 v[83:84], v61 offset0:2 offset1:245
	v_mul_f16_sdwa v85, v25, v88 dst_sel:DWORD dst_unused:UNUSED_PAD src0_sel:DWORD src1_sel:WORD_1
	v_fmac_f16_e32 v86, v25, v88
	v_fma_f16 v85, v26, v88, -v85
	ds_read2_b32 v[25:26], v60 offset0:12 offset1:255
	v_pack_b32_f16 v100, v85, v86
	ds_read2_b32 v[85:86], v57 offset0:8 offset1:251
	ds_read2_b32 v[87:88], v58 offset0:6 offset1:249
	s_waitcnt lgkmcnt(4)
	v_lshrrev_b32_e32 v101, 16, v67
	s_waitcnt vmcnt(9)
	v_mul_f16_sdwa v102, v67, v89 dst_sel:DWORD dst_unused:UNUSED_PAD src0_sel:DWORD src1_sel:WORD_1
	v_lshrrev_b32_e32 v103, 16, v68
	s_waitcnt vmcnt(8)
	v_mul_f16_sdwa v104, v68, v90 dst_sel:DWORD dst_unused:UNUSED_PAD src0_sel:DWORD src1_sel:WORD_1
	s_waitcnt lgkmcnt(3)
	v_lshrrev_b32_e32 v105, 16, v84
	v_mul_f16_sdwa v106, v101, v89 dst_sel:DWORD dst_unused:UNUSED_PAD src0_sel:DWORD src1_sel:WORD_1
	v_fmac_f16_e32 v102, v101, v89
	v_mul_f16_sdwa v101, v103, v90 dst_sel:DWORD dst_unused:UNUSED_PAD src0_sel:DWORD src1_sel:WORD_1
	v_fmac_f16_e32 v104, v103, v90
	v_lshrrev_b32_e32 v103, 16, v83
	v_fma_f16 v67, v67, v89, -v106
	s_waitcnt vmcnt(7)
	v_mul_f16_sdwa v89, v84, v91 dst_sel:DWORD dst_unused:UNUSED_PAD src0_sel:DWORD src1_sel:WORD_1
	v_fma_f16 v68, v68, v90, -v101
	v_mul_f16_sdwa v90, v105, v91 dst_sel:DWORD dst_unused:UNUSED_PAD src0_sel:DWORD src1_sel:WORD_1
	s_waitcnt lgkmcnt(2)
	v_lshrrev_b32_e32 v101, 16, v25
	s_waitcnt vmcnt(6)
	v_mul_f16_sdwa v106, v103, v92 dst_sel:DWORD dst_unused:UNUSED_PAD src0_sel:DWORD src1_sel:WORD_1
	v_fmac_f16_e32 v89, v105, v91
	v_mul_f16_sdwa v105, v83, v92 dst_sel:DWORD dst_unused:UNUSED_PAD src0_sel:DWORD src1_sel:WORD_1
	v_fma_f16 v84, v84, v91, -v90
	v_lshrrev_b32_e32 v90, 16, v26
	v_fma_f16 v83, v83, v92, -v106
	s_waitcnt vmcnt(5)
	v_mul_f16_sdwa v91, v25, v93 dst_sel:DWORD dst_unused:UNUSED_PAD src0_sel:DWORD src1_sel:WORD_1
	v_mul_f16_sdwa v106, v101, v93 dst_sel:DWORD dst_unused:UNUSED_PAD src0_sel:DWORD src1_sel:WORD_1
	v_fmac_f16_e32 v105, v103, v92
	s_waitcnt lgkmcnt(1)
	v_lshrrev_b32_e32 v92, 16, v85
	s_waitcnt vmcnt(4)
	v_mul_f16_sdwa v103, v90, v94 dst_sel:DWORD dst_unused:UNUSED_PAD src0_sel:DWORD src1_sel:WORD_1
	v_fmac_f16_e32 v91, v101, v93
	v_mul_f16_sdwa v101, v26, v94 dst_sel:DWORD dst_unused:UNUSED_PAD src0_sel:DWORD src1_sel:WORD_1
	v_fma_f16 v25, v25, v93, -v106
	v_lshrrev_b32_e32 v93, 16, v86
	v_fma_f16 v26, v26, v94, -v103
	s_waitcnt vmcnt(3)
	v_mul_f16_sdwa v103, v85, v95 dst_sel:DWORD dst_unused:UNUSED_PAD src0_sel:DWORD src1_sel:WORD_1
	v_mul_f16_sdwa v106, v92, v95 dst_sel:DWORD dst_unused:UNUSED_PAD src0_sel:DWORD src1_sel:WORD_1
	v_fmac_f16_e32 v101, v90, v94
	s_waitcnt vmcnt(2)
	v_mul_f16_sdwa v94, v93, v96 dst_sel:DWORD dst_unused:UNUSED_PAD src0_sel:DWORD src1_sel:WORD_1
	v_mul_f16_sdwa v90, v86, v96 dst_sel:DWORD dst_unused:UNUSED_PAD src0_sel:DWORD src1_sel:WORD_1
	v_fmac_f16_e32 v103, v92, v95
	s_waitcnt lgkmcnt(0)
	v_lshrrev_b32_e32 v92, 16, v87
	v_fma_f16 v85, v85, v95, -v106
	s_waitcnt vmcnt(1)
	v_mul_f16_sdwa v95, v87, v97 dst_sel:DWORD dst_unused:UNUSED_PAD src0_sel:DWORD src1_sel:WORD_1
	v_fma_f16 v86, v86, v96, -v94
	v_lshrrev_b32_e32 v94, 16, v88
	s_waitcnt vmcnt(0)
	v_mul_f16_sdwa v106, v88, v98 dst_sel:DWORD dst_unused:UNUSED_PAD src0_sel:DWORD src1_sel:WORD_1
	v_fmac_f16_e32 v90, v93, v96
	v_fmac_f16_e32 v95, v92, v97
	v_mul_f16_sdwa v92, v92, v97 dst_sel:DWORD dst_unused:UNUSED_PAD src0_sel:DWORD src1_sel:WORD_1
	v_mul_f16_sdwa v93, v94, v98 dst_sel:DWORD dst_unused:UNUSED_PAD src0_sel:DWORD src1_sel:WORD_1
	v_fmac_f16_e32 v106, v94, v98
	v_pack_b32_f16 v67, v67, v102
	v_add_nc_u32_e32 v96, 0xb40, v45
	v_fma_f16 v87, v87, v97, -v92
	v_fma_f16 v88, v88, v98, -v93
	v_pack_b32_f16 v25, v25, v91
	v_pack_b32_f16 v68, v68, v104
	v_add_nc_u32_e32 v94, 0x1a80, v45
	v_pack_b32_f16 v85, v85, v103
	v_pack_b32_f16 v84, v84, v89
	;; [unrolled: 1-line block ×7, first 2 shown]
	ds_write2_b32 v99, v100, v67 offset0:3 offset1:246
	ds_write2_b32 v96, v68, v25 offset0:9 offset1:252
	;; [unrolled: 1-line block ×5, first 2 shown]
	ds_write_b32 v45, v88 offset:10692
	s_waitcnt lgkmcnt(0)
	s_barrier
	buffer_gl0_inv
	ds_read2_b32 v[25:26], v61 offset0:2 offset1:245
	ds_read2_b32 v[67:68], v58 offset0:6 offset1:249
	;; [unrolled: 1-line block ×4, first 2 shown]
	ds_read2_b32 v[87:88], v45 offset1:243
	ds_read2_b32 v[89:90], v59 offset0:6 offset1:249
	s_waitcnt lgkmcnt(0)
	s_barrier
	buffer_gl0_inv
	v_pk_add_f16 v91, v25, v67
	v_pk_add_f16 v92, v25, v67 neg_lo:[0,1] neg_hi:[0,1]
	v_pk_add_f16 v93, v83, v85
	v_pk_add_f16 v94, v83, v85 neg_lo:[0,1] neg_hi:[0,1]
	v_pk_add_f16 v83, v87, v83
	v_pk_add_f16 v25, v89, v25
	;; [unrolled: 1-line block ×6, first 2 shown]
	v_pk_add_f16 v99, v26, v68 neg_lo:[0,1] neg_hi:[0,1]
	v_pk_fma_f16 v26, v91, 0.5, v89 op_sel_hi:[1,0,1] neg_lo:[1,0,0] neg_hi:[1,0,0]
	v_pk_add_f16 v84, v84, v86 neg_lo:[0,1] neg_hi:[0,1]
	v_pk_add_f16 v83, v83, v85
	v_pk_add_f16 v25, v25, v67
	;; [unrolled: 1-line block ×3, first 2 shown]
	v_pk_fma_f16 v86, v96, 0.5, v88 op_sel_hi:[1,0,1] neg_lo:[1,0,0] neg_hi:[1,0,0]
	v_pk_fma_f16 v88, v97, 0.5, v90 op_sel_hi:[1,0,1] neg_lo:[1,0,0] neg_hi:[1,0,0]
	v_pk_add_f16 v68, v98, v68
	v_pk_fma_f16 v89, 0x3aee, v92, v26 op_sel:[0,0,1] op_sel_hi:[0,1,0]
	v_pk_fma_f16 v90, 0x3aee, v92, v26 op_sel:[0,0,1] op_sel_hi:[0,1,0] neg_lo:[0,1,0] neg_hi:[0,1,0]
	v_pk_fma_f16 v87, v93, 0.5, v87 op_sel_hi:[1,0,1] neg_lo:[1,0,0] neg_hi:[1,0,0]
	v_pk_add_f16 v26, v83, v25 neg_lo:[0,1] neg_hi:[0,1]
	v_pk_add_f16 v67, v83, v25
	v_pk_fma_f16 v25, 0x3aee, v99, v88 op_sel:[0,0,1] op_sel_hi:[0,1,0] neg_lo:[0,1,0] neg_hi:[0,1,0]
	v_pk_fma_f16 v83, 0x3aee, v99, v88 op_sel:[0,0,1] op_sel_hi:[0,1,0]
	v_pk_fma_f16 v88, 0x3aee, v84, v86 op_sel:[0,0,1] op_sel_hi:[0,1,0] neg_lo:[0,1,0] neg_hi:[0,1,0]
	v_pk_fma_f16 v86, 0x3aee, v84, v86 op_sel:[0,0,1] op_sel_hi:[0,1,0]
	v_pk_add_f16 v84, v85, v68 neg_lo:[0,1] neg_hi:[0,1]
	v_pk_add_f16 v85, v85, v68
	v_lshrrev_b32_e32 v68, 16, v90
	v_mul_f16_e32 v92, 0xbaee, v89
	v_pk_mul_f16 v93, 0x3aee, v90 op_sel_hi:[0,1]
	v_pk_fma_f16 v91, 0x3aee, v94, v87 op_sel:[0,0,1] op_sel_hi:[0,1,0] neg_lo:[0,1,0] neg_hi:[0,1,0]
	v_pk_fma_f16 v87, 0x3aee, v94, v87 op_sel:[0,0,1] op_sel_hi:[0,1,0]
	v_lshrrev_b32_e32 v94, 16, v89
	v_mul_f16_e32 v90, -0.5, v90
	v_pk_mul_f16 v99, 0x3aee, v25 op_sel_hi:[0,1]
	v_lshrrev_b32_e32 v97, 16, v25
	v_mul_f16_e32 v98, 0xbaee, v83
	v_lshrrev_b32_e32 v100, 16, v83
	v_mul_f16_e32 v25, -0.5, v25
	v_fmac_f16_e32 v92, 0.5, v68
	v_pk_fma_f16 v68, 0xb8003800, v89, v93 op_sel:[0,0,1] op_sel_hi:[1,1,0]
	v_pk_fma_f16 v89, 0xb8003800, v89, v93 op_sel:[0,0,1] op_sel_hi:[1,1,0] neg_lo:[0,0,1] neg_hi:[0,0,1]
	v_fmac_f16_e32 v90, 0x3aee, v94
	v_pk_fma_f16 v93, 0xb8003800, v83, v99 op_sel:[0,0,1] op_sel_hi:[1,1,0]
	v_pk_fma_f16 v83, 0xb8003800, v83, v99 op_sel:[0,0,1] op_sel_hi:[1,1,0] neg_lo:[0,0,1] neg_hi:[0,0,1]
	v_fmac_f16_e32 v98, 0.5, v97
	v_fmac_f16_e32 v25, 0x3aee, v100
	v_bfi_b32 v94, 0xffff, v68, v89
	v_add_f16_e32 v97, v91, v90
	v_alignbit_b32 v89, v90, v89, 16
	v_bfi_b32 v90, 0xffff, v93, v83
	v_alignbit_b32 v95, v87, v91, 16
	v_alignbit_b32 v96, v91, v87, 16
	v_pack_b32_f16 v68, v92, v68
	v_add_f16_sdwa v91, v91, v92 dst_sel:DWORD dst_unused:UNUSED_PAD src0_sel:WORD_1 src1_sel:DWORD
	v_add_f16_sdwa v99, v88, v98 dst_sel:DWORD dst_unused:UNUSED_PAD src0_sel:WORD_1 src1_sel:DWORD
	v_pack_b32_f16 v93, v98, v93
	v_alignbit_b32 v98, v25, v83, 16
	v_pk_add_f16 v83, v87, v94
	v_alignbit_b32 v101, v86, v88, 16
	v_alignbit_b32 v102, v88, v86, 16
	v_add_f16_e32 v92, v88, v25
	v_pk_add_f16 v86, v86, v90
	v_pk_add_f16 v87, v95, v68 neg_lo:[0,1] neg_hi:[0,1]
	v_pk_add_f16 v88, v96, v89 neg_lo:[0,1] neg_hi:[0,1]
	v_alignbit_b32 v25, v97, v83, 16
	v_pack_b32_f16 v68, v91, v83
	v_alignbit_b32 v83, v92, v86, 16
	v_pack_b32_f16 v86, v99, v86
	v_pk_add_f16 v89, v101, v93 neg_lo:[0,1] neg_hi:[0,1]
	v_pk_add_f16 v90, v102, v98 neg_lo:[0,1] neg_hi:[0,1]
	ds_write_b64 v82, v[87:88] offset:16
	ds_write2_b64 v82, v[67:68], v[25:26] offset1:1
	ds_write2_b64 v81, v[85:86], v[83:84] offset1:1
	ds_write_b64 v81, v[89:90] offset:16
	s_waitcnt lgkmcnt(0)
	s_barrier
	buffer_gl0_inv
	ds_read2_b32 v[25:26], v59 offset0:6 offset1:249
	ds_read2_b32 v[67:68], v60 offset0:12 offset1:255
	;; [unrolled: 1-line block ×5, first 2 shown]
	ds_read2_b32 v[87:88], v45 offset1:243
	s_waitcnt lgkmcnt(0)
	s_barrier
	buffer_gl0_inv
	v_lshrrev_b32_e32 v89, 16, v25
	v_mul_f16_sdwa v90, v4, v25 dst_sel:DWORD dst_unused:UNUSED_PAD src0_sel:WORD_1 src1_sel:DWORD
	v_lshrrev_b32_e32 v91, 16, v67
	v_mul_f16_sdwa v92, v5, v67 dst_sel:DWORD dst_unused:UNUSED_PAD src0_sel:WORD_1 src1_sel:DWORD
	;; [unrolled: 2-line block ×4, first 2 shown]
	v_fma_f16 v90, v4, v89, -v90
	v_mul_f16_sdwa v89, v4, v89 dst_sel:DWORD dst_unused:UNUSED_PAD src0_sel:WORD_1 src1_sel:DWORD
	v_fma_f16 v92, v5, v91, -v92
	v_mul_f16_sdwa v91, v5, v91 dst_sel:DWORD dst_unused:UNUSED_PAD src0_sel:WORD_1 src1_sel:DWORD
	v_lshrrev_b32_e32 v97, 16, v26
	v_mul_f16_sdwa v98, v0, v26 dst_sel:DWORD dst_unused:UNUSED_PAD src0_sel:WORD_1 src1_sel:DWORD
	v_lshrrev_b32_e32 v99, 16, v68
	;; [unrolled: 2-line block ×5, first 2 shown]
	v_fma_f16 v94, v6, v93, -v94
	v_mul_f16_sdwa v93, v6, v93 dst_sel:DWORD dst_unused:UNUSED_PAD src0_sel:WORD_1 src1_sel:DWORD
	v_fma_f16 v96, v7, v95, -v96
	v_mul_f16_sdwa v95, v7, v95 dst_sel:DWORD dst_unused:UNUSED_PAD src0_sel:WORD_1 src1_sel:DWORD
	v_mul_f16_sdwa v106, v79, v85 dst_sel:DWORD dst_unused:UNUSED_PAD src0_sel:WORD_1 src1_sel:DWORD
	v_fmac_f16_e32 v89, v4, v25
	v_fmac_f16_e32 v91, v5, v67
	v_lshrrev_b32_e32 v4, 16, v86
	v_mul_f16_sdwa v5, v80, v86 dst_sel:DWORD dst_unused:UNUSED_PAD src0_sel:WORD_1 src1_sel:DWORD
	v_fmac_f16_e32 v93, v6, v81
	v_fmac_f16_e32 v95, v7, v83
	v_lshrrev_b32_e32 v6, 16, v87
	v_lshrrev_b32_e32 v7, 16, v88
	v_fma_f16 v25, v0, v97, -v98
	v_mul_f16_sdwa v67, v0, v97 dst_sel:DWORD dst_unused:UNUSED_PAD src0_sel:WORD_1 src1_sel:DWORD
	v_fma_f16 v81, v1, v99, -v100
	v_mul_f16_sdwa v83, v1, v99 dst_sel:DWORD dst_unused:UNUSED_PAD src0_sel:WORD_1 src1_sel:DWORD
	;; [unrolled: 2-line block ×6, first 2 shown]
	v_fmac_f16_e32 v67, v0, v26
	v_fmac_f16_e32 v83, v1, v68
	;; [unrolled: 1-line block ×6, first 2 shown]
	v_add_f16_e32 v0, v6, v92
	v_add_f16_e32 v1, v92, v96
	;; [unrolled: 1-line block ×6, first 2 shown]
	v_sub_f16_e32 v82, v81, v99
	v_add_f16_e32 v85, v7, v81
	v_add_f16_e32 v81, v81, v99
	v_sub_f16_e32 v2, v92, v96
	v_sub_f16_e32 v68, v94, v101
	;; [unrolled: 1-line block ×3, first 2 shown]
	v_add_f16_e32 v0, v0, v96
	v_fmac_f16_e32 v6, -0.5, v1
	v_add_f16_e32 v1, v3, v101
	v_fmac_f16_e32 v90, -0.5, v26
	v_fmac_f16_e32 v25, -0.5, v79
	v_add_f16_e32 v3, v83, v100
	v_add_f16_e32 v26, v88, v83
	;; [unrolled: 1-line block ×4, first 2 shown]
	v_sub_f16_e32 v92, v98, v4
	v_add_f16_e32 v94, v91, v95
	v_add_f16_e32 v96, v87, v91
	v_fmac_f16_e32 v7, -0.5, v81
	v_add_f16_e32 v5, v80, v5
	v_sub_f16_e32 v80, v91, v95
	v_add_f16_e32 v81, v89, v93
	v_add_f16_e32 v91, v93, v102
	v_sub_f16_e32 v93, v93, v102
	v_fmac_f16_e32 v88, -0.5, v3
	v_fmac_f16_e32 v67, -0.5, v79
	v_fmamk_f16 v3, v92, 0x3aee, v25
	v_fmac_f16_e32 v25, 0xbaee, v92
	v_fma_f16 v79, -0.5, v94, v87
	v_add_f16_e32 v87, v96, v95
	v_add_f16_e32 v81, v81, v102
	v_fmac_f16_e32 v89, -0.5, v91
	v_fmamk_f16 v91, v80, 0x3aee, v6
	v_fmac_f16_e32 v6, 0xbaee, v80
	v_fmamk_f16 v80, v93, 0x3aee, v90
	v_add_f16_e32 v92, v0, v1
	v_sub_f16_e32 v0, v0, v1
	v_add_f16_e32 v1, v26, v100
	v_add_f16_e32 v4, v86, v4
	;; [unrolled: 1-line block ×3, first 2 shown]
	v_sub_f16_e32 v83, v83, v100
	v_fmac_f16_e32 v90, 0xbaee, v93
	v_fmamk_f16 v86, v2, 0xbaee, v79
	v_fmac_f16_e32 v79, 0x3aee, v2
	v_fmamk_f16 v2, v68, 0xbaee, v89
	v_fmac_f16_e32 v89, 0x3aee, v68
	v_add_f16_e32 v68, v87, v81
	v_sub_f16_e32 v81, v87, v81
	v_add_f16_e32 v87, v1, v4
	v_sub_f16_e32 v1, v1, v4
	v_mul_f16_e32 v4, 0xbaee, v80
	v_mul_f16_e32 v80, 0.5, v80
	v_fmamk_f16 v26, v83, 0x3aee, v7
	v_fmac_f16_e32 v7, 0xbaee, v83
	v_add_f16_e32 v83, v85, v5
	v_sub_f16_e32 v5, v85, v5
	v_fmamk_f16 v85, v82, 0xbaee, v88
	v_fmac_f16_e32 v88, 0x3aee, v82
	v_fmamk_f16 v82, v84, 0xbaee, v67
	v_fmac_f16_e32 v67, 0x3aee, v84
	v_mul_f16_e32 v84, 0xbaee, v25
	v_mul_f16_e32 v93, 0xbaee, v90
	v_mul_f16_e32 v90, -0.5, v90
	v_mul_f16_e32 v94, 0xbaee, v3
	v_mul_f16_e32 v3, 0.5, v3
	v_mul_f16_e32 v25, -0.5, v25
	v_fmac_f16_e32 v4, 0.5, v2
	v_fmac_f16_e32 v80, 0x3aee, v2
	v_fmac_f16_e32 v84, -0.5, v67
	v_fmac_f16_e32 v93, -0.5, v89
	v_fmac_f16_e32 v90, 0x3aee, v89
	v_fmac_f16_e32 v94, 0.5, v82
	v_fmac_f16_e32 v3, 0x3aee, v82
	v_fmac_f16_e32 v25, 0x3aee, v67
	v_pack_b32_f16 v2, v68, v92
	v_pack_b32_f16 v0, v81, v0
	;; [unrolled: 1-line block ×3, first 2 shown]
	v_add_f16_e32 v81, v86, v4
	v_add_f16_e32 v83, v91, v80
	v_pack_b32_f16 v1, v1, v5
	v_add_f16_e32 v5, v88, v84
	v_sub_f16_e32 v67, v88, v84
	v_add_f16_e32 v82, v79, v93
	v_add_f16_e32 v84, v6, v90
	v_sub_f16_e32 v4, v86, v4
	v_sub_f16_e32 v79, v79, v93
	;; [unrolled: 1-line block ×4, first 2 shown]
	v_add_f16_e32 v86, v85, v94
	v_add_f16_e32 v87, v26, v3
	v_sub_f16_e32 v85, v85, v94
	v_sub_f16_e32 v3, v26, v3
	v_add_f16_e32 v26, v7, v25
	v_sub_f16_e32 v7, v7, v25
	v_pack_b32_f16 v25, v81, v83
	v_pack_b32_f16 v81, v82, v84
	;; [unrolled: 1-line block ×8, first 2 shown]
	ds_write2_b32 v77, v2, v25 offset1:6
	ds_write2_b32 v77, v81, v0 offset0:12 offset1:18
	ds_write2_b32 v77, v4, v6 offset0:24 offset1:30
	ds_write2_b32 v78, v68, v79 offset1:6
	ds_write2_b32 v78, v5, v1 offset0:12 offset1:18
	ds_write2_b32 v78, v3, v7 offset0:24 offset1:30
	s_waitcnt lgkmcnt(0)
	s_barrier
	buffer_gl0_inv
	ds_read2_b32 v[0:1], v60 offset0:12 offset1:255
	ds_read2_b32 v[2:3], v57 offset0:8 offset1:251
	;; [unrolled: 1-line block ×4, first 2 shown]
	ds_read2_b32 v[25:26], v45 offset1:243
	ds_read2_b32 v[67:68], v59 offset0:6 offset1:249
	s_waitcnt lgkmcnt(0)
	s_barrier
	buffer_gl0_inv
	v_lshrrev_b32_e32 v77, 16, v0
	v_mul_f16_sdwa v78, v41, v0 dst_sel:DWORD dst_unused:UNUSED_PAD src0_sel:WORD_1 src1_sel:DWORD
	v_lshrrev_b32_e32 v79, 16, v2
	v_mul_f16_sdwa v80, v42, v2 dst_sel:DWORD dst_unused:UNUSED_PAD src0_sel:WORD_1 src1_sel:DWORD
	v_lshrrev_b32_e32 v81, 16, v1
	v_lshrrev_b32_e32 v82, 16, v3
	v_mul_f16_sdwa v83, v39, v1 dst_sel:DWORD dst_unused:UNUSED_PAD src0_sel:WORD_1 src1_sel:DWORD
	v_mul_f16_sdwa v84, v40, v3 dst_sel:DWORD dst_unused:UNUSED_PAD src0_sel:WORD_1 src1_sel:DWORD
	v_lshrrev_b32_e32 v85, 16, v4
	v_mul_f16_sdwa v86, v37, v4 dst_sel:DWORD dst_unused:UNUSED_PAD src0_sel:WORD_1 src1_sel:DWORD
	v_lshrrev_b32_e32 v87, 16, v6
	v_mul_f16_sdwa v88, v38, v6 dst_sel:DWORD dst_unused:UNUSED_PAD src0_sel:WORD_1 src1_sel:DWORD
	v_lshrrev_b32_e32 v89, 16, v5
	v_lshrrev_b32_e32 v90, 16, v7
	v_mul_f16_sdwa v91, v35, v5 dst_sel:DWORD dst_unused:UNUSED_PAD src0_sel:WORD_1 src1_sel:DWORD
	v_mul_f16_sdwa v92, v36, v7 dst_sel:DWORD dst_unused:UNUSED_PAD src0_sel:WORD_1 src1_sel:DWORD
	v_fma_f16 v78, v41, v77, -v78
	v_mul_f16_sdwa v77, v41, v77 dst_sel:DWORD dst_unused:UNUSED_PAD src0_sel:WORD_1 src1_sel:DWORD
	v_mul_f16_sdwa v97, v42, v79 dst_sel:DWORD dst_unused:UNUSED_PAD src0_sel:WORD_1 src1_sel:DWORD
	v_fma_f16 v79, v42, v79, -v80
	v_mul_f16_sdwa v80, v39, v81 dst_sel:DWORD dst_unused:UNUSED_PAD src0_sel:WORD_1 src1_sel:DWORD
	v_mul_f16_sdwa v98, v40, v82 dst_sel:DWORD dst_unused:UNUSED_PAD src0_sel:WORD_1 src1_sel:DWORD
	v_lshrrev_b32_e32 v94, 16, v25
	v_lshrrev_b32_e32 v96, 16, v67
	v_fma_f16 v81, v39, v81, -v83
	v_fma_f16 v82, v40, v82, -v84
	;; [unrolled: 1-line block ×3, first 2 shown]
	v_mul_f16_sdwa v84, v37, v85 dst_sel:DWORD dst_unused:UNUSED_PAD src0_sel:WORD_1 src1_sel:DWORD
	v_mul_f16_sdwa v85, v38, v87 dst_sel:DWORD dst_unused:UNUSED_PAD src0_sel:WORD_1 src1_sel:DWORD
	v_fma_f16 v86, v38, v87, -v88
	v_mul_f16_sdwa v87, v35, v89 dst_sel:DWORD dst_unused:UNUSED_PAD src0_sel:WORD_1 src1_sel:DWORD
	v_mul_f16_sdwa v88, v36, v90 dst_sel:DWORD dst_unused:UNUSED_PAD src0_sel:WORD_1 src1_sel:DWORD
	v_fma_f16 v89, v35, v89, -v91
	v_fma_f16 v90, v36, v90, -v92
	v_fmac_f16_e32 v77, v41, v0
	v_fmac_f16_e32 v97, v42, v2
	;; [unrolled: 1-line block ×4, first 2 shown]
	v_add_f16_e32 v2, v78, v79
	v_lshrrev_b32_e32 v93, 16, v26
	v_lshrrev_b32_e32 v95, 16, v68
	v_fmac_f16_e32 v84, v37, v4
	v_fmac_f16_e32 v85, v38, v6
	;; [unrolled: 1-line block ×4, first 2 shown]
	v_add_f16_e32 v0, v81, v82
	v_add_f16_e32 v3, v94, v78
	;; [unrolled: 1-line block ×5, first 2 shown]
	v_fmac_f16_e32 v94, -0.5, v2
	v_add_f16_e32 v2, v80, v98
	v_add_f16_e32 v40, v77, v97
	;; [unrolled: 1-line block ×4, first 2 shown]
	v_fmac_f16_e32 v93, -0.5, v0
	v_add_f16_e32 v0, v3, v79
	v_fmac_f16_e32 v95, -0.5, v6
	v_fmac_f16_e32 v96, -0.5, v35
	v_add_f16_e32 v3, v36, v86
	v_sub_f16_e32 v6, v80, v98
	v_add_f16_e32 v35, v26, v80
	v_add_f16_e32 v36, v25, v77
	;; [unrolled: 1-line block ×4, first 2 shown]
	v_sub_f16_e32 v4, v81, v82
	v_sub_f16_e32 v5, v78, v79
	;; [unrolled: 1-line block ×3, first 2 shown]
	v_add_f16_e32 v77, v68, v87
	v_fmac_f16_e32 v26, -0.5, v2
	v_fma_f16 v25, -0.5, v40, v25
	v_sub_f16_e32 v37, v89, v90
	v_sub_f16_e32 v38, v83, v86
	;; [unrolled: 1-line block ×3, first 2 shown]
	v_add_f16_e32 v78, v67, v84
	v_sub_f16_e32 v79, v84, v85
	v_fmamk_f16 v2, v6, 0x3aee, v93
	v_fmac_f16_e32 v93, 0xbaee, v6
	v_add_f16_e32 v6, v36, v97
	v_fmac_f16_e32 v68, -0.5, v41
	v_fma_f16 v40, -0.5, v80, v67
	v_fmamk_f16 v36, v39, 0x3aee, v94
	v_add_f16_e32 v67, v77, v88
	v_fmamk_f16 v77, v4, 0xbaee, v26
	v_fmac_f16_e32 v26, 0x3aee, v4
	v_fmamk_f16 v4, v5, 0xbaee, v25
	v_fmac_f16_e32 v94, 0xbaee, v39
	v_fmac_f16_e32 v25, 0x3aee, v5
	v_add_f16_e32 v1, v1, v82
	v_add_f16_e32 v35, v35, v98
	;; [unrolled: 1-line block ×3, first 2 shown]
	v_fmamk_f16 v39, v42, 0x3aee, v95
	v_fmac_f16_e32 v95, 0xbaee, v42
	v_add_f16_e32 v41, v78, v85
	v_fmamk_f16 v42, v79, 0x3aee, v96
	v_pack_b32_f16 v0, v6, v0
	v_fmamk_f16 v5, v37, 0xbaee, v68
	v_fmamk_f16 v6, v38, 0xbaee, v40
	v_fmac_f16_e32 v96, 0xbaee, v79
	v_fmac_f16_e32 v68, 0x3aee, v37
	;; [unrolled: 1-line block ×3, first 2 shown]
	v_pack_b32_f16 v4, v4, v36
	v_pack_b32_f16 v25, v25, v94
	v_pack_b32_f16 v1, v35, v1
	v_pack_b32_f16 v2, v77, v2
	v_pack_b32_f16 v26, v26, v93
	v_pack_b32_f16 v3, v41, v3
	v_pack_b32_f16 v7, v67, v7
	v_pack_b32_f16 v6, v6, v42
	v_pack_b32_f16 v5, v5, v39
	v_pack_b32_f16 v35, v68, v95
	v_pack_b32_f16 v36, v40, v96
	ds_write2_b32 v73, v0, v4 offset1:36
	ds_write_b32 v73, v25 offset:288
	ds_write2_b32 v74, v1, v2 offset1:36
	ds_write_b32 v74, v26 offset:288
	;; [unrolled: 2-line block ×4, first 2 shown]
	s_waitcnt lgkmcnt(0)
	s_barrier
	buffer_gl0_inv
	ds_read2_b32 v[4:5], v60 offset0:12 offset1:255
	ds_read2_b32 v[6:7], v57 offset0:8 offset1:251
	;; [unrolled: 1-line block ×4, first 2 shown]
	ds_read2_b32 v[37:38], v45 offset1:243
	ds_read2_b32 v[39:40], v59 offset0:6 offset1:249
	v_mad_u64_u32 v[0:1], null, s50, v8, 0
	v_mad_u64_u32 v[2:3], null, s48, v56, 0
	s_waitcnt lgkmcnt(0)
	s_barrier
	buffer_gl0_inv
	s_mul_hi_u32 s50, s48, 0x798
	s_add_i32 s50, s50, s2
	v_lshrrev_b32_e32 v41, 16, v4
	v_mul_f16_sdwa v42, v29, v4 dst_sel:DWORD dst_unused:UNUSED_PAD src0_sel:WORD_1 src1_sel:DWORD
	v_lshrrev_b32_e32 v67, 16, v6
	v_mul_f16_sdwa v68, v30, v6 dst_sel:DWORD dst_unused:UNUSED_PAD src0_sel:WORD_1 src1_sel:DWORD
	;; [unrolled: 2-line block ×7, first 2 shown]
	v_lshrrev_b32_e32 v83, 16, v36
	v_fma_f16 v42, v29, v41, -v42
	v_mul_f16_sdwa v41, v29, v41 dst_sel:DWORD dst_unused:UNUSED_PAD src0_sel:WORD_1 src1_sel:DWORD
	v_mul_f16_sdwa v89, v30, v67 dst_sel:DWORD dst_unused:UNUSED_PAD src0_sel:WORD_1 src1_sel:DWORD
	v_fma_f16 v67, v30, v67, -v68
	v_mul_f16_sdwa v68, v27, v73 dst_sel:DWORD dst_unused:UNUSED_PAD src0_sel:WORD_1 src1_sel:DWORD
	v_fma_f16 v73, v27, v73, -v74
	;; [unrolled: 2-line block ×3, first 2 shown]
	v_mul_f16_sdwa v84, v32, v36 dst_sel:DWORD dst_unused:UNUSED_PAD src0_sel:WORD_1 src1_sel:DWORD
	v_lshrrev_b32_e32 v86, 16, v37
	v_fma_f16 v76, v33, v77, -v78
	v_mul_f16_sdwa v77, v33, v77 dst_sel:DWORD dst_unused:UNUSED_PAD src0_sel:WORD_1 src1_sel:DWORD
	v_fma_f16 v78, v34, v79, -v80
	v_mul_f16_sdwa v79, v34, v79 dst_sel:DWORD dst_unused:UNUSED_PAD src0_sel:WORD_1 src1_sel:DWORD
	v_mul_f16_sdwa v80, v31, v81 dst_sel:DWORD dst_unused:UNUSED_PAD src0_sel:WORD_1 src1_sel:DWORD
	v_fma_f16 v81, v31, v81, -v82
	v_mul_f16_sdwa v82, v32, v83 dst_sel:DWORD dst_unused:UNUSED_PAD src0_sel:WORD_1 src1_sel:DWORD
	v_lshrrev_b32_e32 v85, 16, v38
	v_fmac_f16_e32 v41, v29, v4
	v_fmac_f16_e32 v89, v30, v6
	;; [unrolled: 1-line block ×4, first 2 shown]
	v_add_f16_e32 v4, v73, v75
	v_lshrrev_b32_e32 v87, 16, v39
	v_lshrrev_b32_e32 v88, 16, v40
	v_fma_f16 v83, v32, v83, -v84
	v_fmac_f16_e32 v77, v33, v25
	v_fmac_f16_e32 v79, v34, v35
	v_fmac_f16_e32 v80, v31, v26
	v_fmac_f16_e32 v82, v32, v36
	v_add_f16_e32 v7, v86, v42
	v_add_f16_e32 v28, v76, v78
	;; [unrolled: 1-line block ×4, first 2 shown]
	v_fmac_f16_e32 v85, -0.5, v4
	v_add_f16_e32 v4, v68, v74
	v_sub_f16_e32 v34, v68, v74
	v_add_f16_e32 v35, v41, v89
	v_add_f16_e32 v27, v87, v76
	;; [unrolled: 1-line block ×3, first 2 shown]
	v_sub_f16_e32 v26, v42, v67
	v_add_f16_e32 v31, v81, v83
	v_add_f16_e32 v36, v37, v41
	;; [unrolled: 1-line block ×3, first 2 shown]
	v_fmac_f16_e32 v87, -0.5, v28
	v_sub_f16_e32 v28, v41, v89
	v_add_f16_e32 v41, v77, v79
	v_add_f16_e32 v67, v80, v82
	v_sub_f16_e32 v6, v73, v75
	v_add_f16_e32 v33, v38, v68
	v_fmac_f16_e32 v86, -0.5, v25
	v_fmac_f16_e32 v38, -0.5, v4
	v_fmamk_f16 v4, v34, 0x3aee, v85
	v_fmac_f16_e32 v85, 0xbaee, v34
	v_fma_f16 v34, -0.5, v35, v37
	v_add_f16_e32 v25, v27, v78
	v_add_f16_e32 v27, v30, v83
	;; [unrolled: 1-line block ×3, first 2 shown]
	v_sub_f16_e32 v29, v76, v78
	v_sub_f16_e32 v32, v81, v83
	v_fmac_f16_e32 v88, -0.5, v31
	v_sub_f16_e32 v31, v77, v79
	v_add_f16_e32 v42, v40, v80
	v_sub_f16_e32 v68, v80, v82
	v_fmac_f16_e32 v40, -0.5, v67
	v_fma_f16 v39, -0.5, v41, v39
	v_add_f16_e32 v35, v36, v89
	v_fmamk_f16 v36, v28, 0x3aee, v86
	v_fmamk_f16 v41, v6, 0xbaee, v38
	v_fmac_f16_e32 v38, 0x3aee, v6
	v_fmamk_f16 v6, v26, 0xbaee, v34
	v_fmac_f16_e32 v86, 0xbaee, v28
	v_add_f16_e32 v30, v30, v79
	v_fmac_f16_e32 v34, 0x3aee, v26
	v_add_f16_e32 v5, v5, v75
	v_add_f16_e32 v28, v33, v74
	v_fmamk_f16 v33, v31, 0x3aee, v87
	v_fmac_f16_e32 v87, 0xbaee, v31
	v_add_f16_e32 v31, v42, v82
	v_fmamk_f16 v37, v68, 0x3aee, v88
	v_fmamk_f16 v26, v29, 0xbaee, v39
	v_fmac_f16_e32 v39, 0x3aee, v29
	v_fmamk_f16 v29, v32, 0xbaee, v40
	v_fmac_f16_e32 v88, 0xbaee, v68
	v_fmac_f16_e32 v40, 0x3aee, v32
	v_pack_b32_f16 v7, v35, v7
	v_pack_b32_f16 v6, v6, v36
	;; [unrolled: 1-line block ×12, first 2 shown]
	ds_write2_b32 v69, v7, v6 offset1:108
	ds_write_b32 v69, v30 offset:864
	ds_write2_b32 v72, v5, v4 offset1:108
	ds_write_b32 v72, v28 offset:864
	;; [unrolled: 2-line block ×4, first 2 shown]
	s_waitcnt lgkmcnt(0)
	s_barrier
	buffer_gl0_inv
	ds_read2_b32 v[4:5], v60 offset0:12 offset1:255
	ds_read2_b32 v[6:7], v57 offset0:8 offset1:251
	v_mad_u64_u32 v[29:30], null, s51, v8, v[1:2]
	v_mov_b32_e32 v1, v3
	ds_read2_b32 v[25:26], v61 offset0:2 offset1:245
	ds_read2_b32 v[27:28], v58 offset0:6 offset1:249
	v_mad_u64_u32 v[30:31], null, s49, v56, v[1:2]
	ds_read2_b32 v[31:32], v45 offset1:243
	ds_read2_b32 v[33:34], v59 offset0:6 offset1:249
	v_mov_b32_e32 v1, v29
	s_waitcnt lgkmcnt(0)
	s_barrier
	buffer_gl0_inv
	v_lshlrev_b64 v[0:1], 2, v[0:1]
	v_lshrrev_b32_e32 v3, 16, v4
	v_lshrrev_b32_e32 v8, 16, v6
	v_mul_f16_sdwa v29, v11, v4 dst_sel:DWORD dst_unused:UNUSED_PAD src0_sel:WORD_1 src1_sel:DWORD
	v_lshrrev_b32_e32 v37, 16, v7
	v_mul_f16_sdwa v39, v10, v7 dst_sel:DWORD dst_unused:UNUSED_PAD src0_sel:WORD_1 src1_sel:DWORD
	v_lshrrev_b32_e32 v40, 16, v25
	v_mul_f16_sdwa v41, v15, v25 dst_sel:DWORD dst_unused:UNUSED_PAD src0_sel:WORD_1 src1_sel:DWORD
	v_lshrrev_b32_e32 v42, 16, v27
	v_mul_f16_sdwa v56, v16, v27 dst_sel:DWORD dst_unused:UNUSED_PAD src0_sel:WORD_1 src1_sel:DWORD
	v_lshrrev_b32_e32 v35, 16, v5
	v_mul_f16_sdwa v36, v12, v6 dst_sel:DWORD dst_unused:UNUSED_PAD src0_sel:WORD_1 src1_sel:DWORD
	v_mul_f16_sdwa v38, v9, v5 dst_sel:DWORD dst_unused:UNUSED_PAD src0_sel:WORD_1 src1_sel:DWORD
	v_lshrrev_b32_e32 v67, 16, v26
	v_mul_f16_sdwa v68, v13, v26 dst_sel:DWORD dst_unused:UNUSED_PAD src0_sel:WORD_1 src1_sel:DWORD
	v_lshrrev_b32_e32 v69, 16, v28
	;; [unrolled: 2-line block ×3, first 2 shown]
	v_mul_f16_sdwa v75, v11, v3 dst_sel:DWORD dst_unused:UNUSED_PAD src0_sel:WORD_1 src1_sel:DWORD
	v_fma_f16 v3, v11, v3, -v29
	v_mul_f16_sdwa v29, v12, v8 dst_sel:DWORD dst_unused:UNUSED_PAD src0_sel:WORD_1 src1_sel:DWORD
	v_mul_f16_sdwa v76, v10, v37 dst_sel:DWORD dst_unused:UNUSED_PAD src0_sel:WORD_1 src1_sel:DWORD
	v_fma_f16 v37, v10, v37, -v39
	v_fma_f16 v39, v15, v40, -v41
	;; [unrolled: 1-line block ×4, first 2 shown]
	v_mul_f16_sdwa v36, v9, v35 dst_sel:DWORD dst_unused:UNUSED_PAD src0_sel:WORD_1 src1_sel:DWORD
	v_fma_f16 v35, v9, v35, -v38
	v_mul_f16_sdwa v38, v15, v40 dst_sel:DWORD dst_unused:UNUSED_PAD src0_sel:WORD_1 src1_sel:DWORD
	v_mul_f16_sdwa v40, v16, v42 dst_sel:DWORD dst_unused:UNUSED_PAD src0_sel:WORD_1 src1_sel:DWORD
	v_mul_f16_sdwa v42, v13, v67 dst_sel:DWORD dst_unused:UNUSED_PAD src0_sel:WORD_1 src1_sel:DWORD
	v_fma_f16 v56, v13, v67, -v68
	v_mul_f16_sdwa v67, v14, v69 dst_sel:DWORD dst_unused:UNUSED_PAD src0_sel:WORD_1 src1_sel:DWORD
	v_fma_f16 v68, v14, v69, -v70
	v_lshrrev_b32_e32 v72, 16, v32
	v_lshrrev_b32_e32 v73, 16, v33
	v_fmac_f16_e32 v75, v11, v4
	v_fmac_f16_e32 v29, v12, v6
	v_add_f16_e32 v4, v71, v3
	v_add_f16_e32 v11, v39, v41
	v_lshrrev_b32_e32 v74, 16, v34
	v_fmac_f16_e32 v36, v9, v5
	v_fmac_f16_e32 v76, v10, v7
	;; [unrolled: 1-line block ×3, first 2 shown]
	v_add_f16_e32 v14, v56, v68
	v_fmac_f16_e32 v38, v15, v25
	v_fmac_f16_e32 v40, v16, v27
	;; [unrolled: 1-line block ×3, first 2 shown]
	v_add_f16_e32 v5, v3, v8
	v_sub_f16_e32 v3, v3, v8
	v_add_f16_e32 v6, v72, v35
	v_add_f16_e32 v10, v73, v39
	;; [unrolled: 1-line block ×3, first 2 shown]
	v_fmac_f16_e32 v73, -0.5, v11
	v_add_f16_e32 v8, v31, v75
	v_add_f16_e32 v11, v75, v29
	;; [unrolled: 1-line block ×4, first 2 shown]
	v_fmac_f16_e32 v74, -0.5, v14
	v_add_f16_e32 v14, v36, v76
	v_add_f16_e32 v27, v38, v40
	v_sub_f16_e32 v9, v35, v37
	v_fmac_f16_e32 v71, -0.5, v5
	v_add_f16_e32 v5, v6, v37
	v_add_f16_e32 v6, v10, v41
	v_sub_f16_e32 v10, v75, v29
	v_add_f16_e32 v25, v33, v38
	v_add_f16_e32 v28, v34, v42
	;; [unrolled: 1-line block ×4, first 2 shown]
	v_fma_f16 v11, -0.5, v11, v31
	v_fmac_f16_e32 v72, -0.5, v7
	v_add_f16_e32 v7, v13, v68
	v_add_f16_e32 v13, v32, v36
	v_sub_f16_e32 v16, v36, v76
	v_fmac_f16_e32 v32, -0.5, v14
	v_sub_f16_e32 v12, v39, v41
	v_sub_f16_e32 v26, v38, v40
	v_fma_f16 v27, -0.5, v27, v33
	v_sub_f16_e32 v15, v56, v68
	v_sub_f16_e32 v36, v42, v67
	v_fmamk_f16 v29, v10, 0x3aee, v71
	v_add_f16_e32 v14, v25, v40
	v_add_f16_e32 v25, v28, v67
	v_fmac_f16_e32 v34, -0.5, v35
	v_fmamk_f16 v28, v3, 0xbaee, v11
	v_pack_b32_f16 v4, v8, v4
	v_fmac_f16_e32 v71, 0xbaee, v10
	v_fmac_f16_e32 v11, 0x3aee, v3
	v_add_f16_e32 v10, v13, v76
	v_fmamk_f16 v13, v16, 0x3aee, v72
	v_fmamk_f16 v3, v9, 0xbaee, v32
	v_fmac_f16_e32 v72, 0xbaee, v16
	v_fmamk_f16 v16, v26, 0x3aee, v73
	v_fmac_f16_e32 v32, 0x3aee, v9
	;; [unrolled: 2-line block ×4, first 2 shown]
	v_fmac_f16_e32 v27, 0x3aee, v12
	v_fmamk_f16 v12, v15, 0xbaee, v34
	v_fmac_f16_e32 v34, 0x3aee, v15
	ds_write_b32 v45, v4
	v_pack_b32_f16 v4, v28, v29
	v_pack_b32_f16 v8, v11, v71
	;; [unrolled: 1-line block ×11, first 2 shown]
	ds_write_b32 v45, v4 offset:1296
	ds_write_b32 v45, v8 offset:2592
	ds_write_b32 v62, v5
	ds_write_b32 v62, v3 offset:1296
	ds_write_b32 v62, v10 offset:2592
	ds_write_b32 v64, v6
	ds_write_b32 v64, v9 offset:1296
	ds_write_b32 v64, v11 offset:2592
	;; [unrolled: 1-line block ×5, first 2 shown]
	s_waitcnt lgkmcnt(0)
	s_barrier
	buffer_gl0_inv
	ds_read2_b32 v[4:5], v45 offset1:243
	ds_read2_b32 v[6:7], v60 offset0:12 offset1:255
	ds_read2_b32 v[8:9], v57 offset0:8 offset1:251
	;; [unrolled: 1-line block ×5, first 2 shown]
	v_mov_b32_e32 v3, v30
	v_add_co_u32 v0, vcc_lo, s0, v0
	v_add_co_ci_u32_e32 v1, vcc_lo, s1, v1, vcc_lo
	v_lshlrev_b64 v[2:3], 2, v[2:3]
	s_mov_b32 s0, 0xe0bf08c7
	s_mov_b32 s1, 0x3f367980
	v_add_co_u32 v0, vcc_lo, v0, v2
	v_add_co_ci_u32_e32 v1, vcc_lo, v1, v3, vcc_lo
	s_waitcnt lgkmcnt(5)
	v_lshrrev_b32_e32 v25, 16, v5
	s_waitcnt lgkmcnt(4)
	v_lshrrev_b32_e32 v3, 16, v6
	;; [unrolled: 2-line block ×3, first 2 shown]
	v_mul_f16_sdwa v30, v21, v6 dst_sel:DWORD dst_unused:UNUSED_PAD src0_sel:WORD_1 src1_sel:DWORD
	v_lshrrev_b32_e32 v26, 16, v7
	v_lshrrev_b32_e32 v27, 16, v9
	s_waitcnt lgkmcnt(1)
	v_lshrrev_b32_e32 v29, 16, v12
	s_waitcnt lgkmcnt(0)
	v_lshrrev_b32_e32 v31, 16, v14
	v_mul_f16_sdwa v33, v22, v8 dst_sel:DWORD dst_unused:UNUSED_PAD src0_sel:WORD_1 src1_sel:DWORD
	v_mul_f16_sdwa v36, v17, v7 dst_sel:DWORD dst_unused:UNUSED_PAD src0_sel:WORD_1 src1_sel:DWORD
	;; [unrolled: 1-line block ×3, first 2 shown]
	v_lshrrev_b32_e32 v34, 16, v13
	v_lshrrev_b32_e32 v35, 16, v15
	v_mul_f16_sdwa v38, v23, v12 dst_sel:DWORD dst_unused:UNUSED_PAD src0_sel:WORD_1 src1_sel:DWORD
	v_mul_f16_sdwa v39, v24, v14 dst_sel:DWORD dst_unused:UNUSED_PAD src0_sel:WORD_1 src1_sel:DWORD
	;; [unrolled: 1-line block ×5, first 2 shown]
	v_fma_f16 v3, v21, v3, -v30
	v_mul_f16_sdwa v30, v22, v16 dst_sel:DWORD dst_unused:UNUSED_PAD src0_sel:WORD_1 src1_sel:DWORD
	v_fma_f16 v16, v22, v16, -v33
	v_mul_f16_sdwa v33, v17, v26 dst_sel:DWORD dst_unused:UNUSED_PAD src0_sel:WORD_1 src1_sel:DWORD
	v_mul_f16_sdwa v56, v18, v27 dst_sel:DWORD dst_unused:UNUSED_PAD src0_sel:WORD_1 src1_sel:DWORD
	v_fma_f16 v26, v17, v26, -v36
	v_fma_f16 v27, v18, v27, -v37
	v_mul_f16_sdwa v36, v23, v29 dst_sel:DWORD dst_unused:UNUSED_PAD src0_sel:WORD_1 src1_sel:DWORD
	v_mul_f16_sdwa v37, v24, v31 dst_sel:DWORD dst_unused:UNUSED_PAD src0_sel:WORD_1 src1_sel:DWORD
	v_fma_f16 v29, v23, v29, -v38
	v_fma_f16 v31, v24, v31, -v39
	v_mul_f16_sdwa v38, v19, v34 dst_sel:DWORD dst_unused:UNUSED_PAD src0_sel:WORD_1 src1_sel:DWORD
	v_mul_f16_sdwa v39, v20, v35 dst_sel:DWORD dst_unused:UNUSED_PAD src0_sel:WORD_1 src1_sel:DWORD
	v_lshrrev_b32_e32 v2, 16, v4
	v_fma_f16 v34, v19, v34, -v40
	v_fma_f16 v35, v20, v35, -v41
	v_fmac_f16_e32 v42, v21, v6
	v_fmac_f16_e32 v30, v22, v8
	;; [unrolled: 1-line block ×8, first 2 shown]
	v_add_f16_e32 v9, v25, v26
	v_lshrrev_b32_e32 v28, 16, v10
	v_lshrrev_b32_e32 v32, 16, v11
	v_sub_f16_e32 v6, v3, v16
	v_add_f16_e32 v7, v2, v3
	v_add_f16_e32 v3, v3, v16
	;; [unrolled: 1-line block ×8, first 2 shown]
	v_sub_f16_e32 v8, v26, v27
	v_add_f16_e32 v9, v9, v27
	v_add_f16_e32 v27, v38, v39
	;; [unrolled: 1-line block ×6, first 2 shown]
	v_fmac_f16_e32 v2, -0.5, v3
	v_sub_f16_e32 v3, v42, v30
	v_add_f16_e32 v16, v5, v33
	v_fmac_f16_e32 v25, -0.5, v12
	v_sub_f16_e32 v12, v33, v56
	v_add_f16_e32 v23, v10, v36
	v_fmac_f16_e32 v32, -0.5, v19
	v_sub_f16_e32 v19, v38, v39
	v_fma_f16 v4, -0.5, v21, v4
	v_sub_f16_e32 v13, v29, v31
	v_fmac_f16_e32 v28, -0.5, v15
	v_sub_f16_e32 v15, v36, v37
	v_fmac_f16_e32 v5, -0.5, v22
	v_fma_f16 v10, -0.5, v24, v10
	v_sub_f16_e32 v17, v34, v35
	v_add_f16_e32 v26, v11, v38
	v_fmac_f16_e32 v11, -0.5, v27
	v_add_f16_e32 v14, v14, v31
	v_fmamk_f16 v21, v3, 0x3aee, v2
	v_fmac_f16_e32 v2, 0xbaee, v3
	v_add_f16_e32 v3, v16, v56
	v_fmamk_f16 v16, v12, 0x3aee, v25
	v_fmac_f16_e32 v25, 0xbaee, v12
	v_add_f16_e32 v12, v23, v37
	v_fmamk_f16 v23, v19, 0x3aee, v32
	v_fmac_f16_e32 v32, 0xbaee, v19
	v_fmamk_f16 v19, v6, 0xbaee, v4
	v_fmac_f16_e32 v4, 0x3aee, v6
	v_add_f16_e32 v20, v20, v30
	v_fmamk_f16 v22, v15, 0x3aee, v28
	v_fmamk_f16 v6, v8, 0xbaee, v5
	v_fmac_f16_e32 v5, 0x3aee, v8
	v_fmamk_f16 v8, v13, 0xbaee, v10
	v_add_f16_e32 v18, v18, v35
	v_fmac_f16_e32 v28, 0xbaee, v15
	v_add_f16_e32 v15, v26, v39
	v_fmac_f16_e32 v10, 0x3aee, v13
	v_fmamk_f16 v13, v17, 0xbaee, v11
	v_fmac_f16_e32 v11, 0x3aee, v17
	v_pack_b32_f16 v3, v3, v9
	v_pack_b32_f16 v9, v12, v14
	;; [unrolled: 1-line block ×12, first 2 shown]
	ds_write_b32 v45, v14 offset:3888
	ds_write_b32 v45, v2 offset:7776
	ds_write2_b32 v45, v7, v3 offset1:243
	ds_write2_b32 v65, v4, v6 offset0:7 offset1:250
	ds_write2_b32 v66, v5, v8 offset0:11 offset1:254
	ds_write2_b32 v59, v9, v12 offset0:6 offset1:249
	ds_write_b32 v45, v10 offset:6804
	ds_write_b32 v45, v11 offset:10692
	s_waitcnt lgkmcnt(0)
	s_barrier
	buffer_gl0_inv
	ds_read2_b32 v[8:9], v45 offset1:243
	ds_read2_b32 v[10:11], v59 offset0:6 offset1:249
	ds_read2_b32 v[12:13], v60 offset0:12 offset1:255
	ds_read2_b32 v[14:15], v61 offset0:2 offset1:245
	ds_read2_b32 v[16:17], v57 offset0:8 offset1:251
	ds_read2_b32 v[18:19], v58 offset0:6 offset1:249
	v_add_co_u32 v2, vcc_lo, v0, s47
	v_add_co_ci_u32_e32 v3, vcc_lo, s50, v1, vcc_lo
	v_add_co_u32 v4, vcc_lo, v2, s47
	v_add_co_ci_u32_e32 v5, vcc_lo, s50, v3, vcc_lo
	v_add_co_u32 v6, vcc_lo, v4, s47
	v_add_co_ci_u32_e32 v7, vcc_lo, s50, v5, vcc_lo
	s_waitcnt lgkmcnt(5)
	v_lshrrev_b32_e32 v20, 16, v8
	v_mul_f16_sdwa v21, v43, v8 dst_sel:DWORD dst_unused:UNUSED_PAD src0_sel:WORD_1 src1_sel:DWORD
	s_waitcnt lgkmcnt(4)
	v_lshrrev_b32_e32 v22, 16, v10
	v_mul_f16_sdwa v23, v44, v10 dst_sel:DWORD dst_unused:UNUSED_PAD src0_sel:WORD_1 src1_sel:DWORD
	;; [unrolled: 3-line block ×3, first 2 shown]
	v_lshrrev_b32_e32 v32, 16, v9
	v_mul_f16_sdwa v56, v43, v20 dst_sel:DWORD dst_unused:UNUSED_PAD src0_sel:WORD_1 src1_sel:DWORD
	v_fma_f16 v20, v43, v20, -v21
	v_fma_f16 v21, v44, v22, -v23
	v_lshrrev_b32_e32 v24, 16, v12
	v_mul_f16_sdwa v25, v46, v12 dst_sel:DWORD dst_unused:UNUSED_PAD src0_sel:WORD_1 src1_sel:DWORD
	s_waitcnt lgkmcnt(1)
	v_lshrrev_b32_e32 v28, 16, v16
	v_mul_f16_sdwa v29, v48, v16 dst_sel:DWORD dst_unused:UNUSED_PAD src0_sel:WORD_1 src1_sel:DWORD
	v_mul_f16_sdwa v33, v49, v9 dst_sel:DWORD dst_unused:UNUSED_PAD src0_sel:WORD_1 src1_sel:DWORD
	v_lshrrev_b32_e32 v36, 16, v13
	v_fma_f16 v23, v47, v26, -v27
	v_mul_f16_sdwa v62, v49, v32 dst_sel:DWORD dst_unused:UNUSED_PAD src0_sel:WORD_1 src1_sel:DWORD
	v_cvt_f32_f16_e32 v21, v21
	s_waitcnt lgkmcnt(0)
	v_lshrrev_b32_e32 v30, 16, v18
	v_mul_f16_sdwa v31, v50, v18 dst_sel:DWORD dst_unused:UNUSED_PAD src0_sel:WORD_1 src1_sel:DWORD
	v_lshrrev_b32_e32 v34, 16, v11
	v_mul_f16_sdwa v35, v51, v11 dst_sel:DWORD dst_unused:UNUSED_PAD src0_sel:WORD_1 src1_sel:DWORD
	;; [unrolled: 2-line block ×3, first 2 shown]
	v_mul_f16_sdwa v58, v46, v24 dst_sel:DWORD dst_unused:UNUSED_PAD src0_sel:WORD_1 src1_sel:DWORD
	v_fma_f16 v22, v46, v24, -v25
	v_mul_f16_sdwa v59, v47, v26 dst_sel:DWORD dst_unused:UNUSED_PAD src0_sel:WORD_1 src1_sel:DWORD
	v_fma_f16 v24, v48, v28, -v29
	v_fma_f16 v26, v49, v32, -v33
	v_mul_f16_sdwa v33, v52, v36 dst_sel:DWORD dst_unused:UNUSED_PAD src0_sel:WORD_1 src1_sel:DWORD
	v_cvt_f32_f16_e32 v23, v23
	v_fmac_f16_e32 v56, v43, v8
	v_fmac_f16_e32 v62, v49, v9
	v_cvt_f64_f32_e32 v[8:9], v21
	v_mul_f16_sdwa v37, v52, v13 dst_sel:DWORD dst_unused:UNUSED_PAD src0_sel:WORD_1 src1_sel:DWORD
	v_mul_f16_sdwa v39, v53, v15 dst_sel:DWORD dst_unused:UNUSED_PAD src0_sel:WORD_1 src1_sel:DWORD
	v_lshrrev_b32_e32 v40, 16, v17
	v_mul_f16_sdwa v41, v54, v17 dst_sel:DWORD dst_unused:UNUSED_PAD src0_sel:WORD_1 src1_sel:DWORD
	v_lshrrev_b32_e32 v42, 16, v19
	v_mul_f16_sdwa v45, v55, v19 dst_sel:DWORD dst_unused:UNUSED_PAD src0_sel:WORD_1 src1_sel:DWORD
	v_mul_f16_sdwa v60, v48, v28 dst_sel:DWORD dst_unused:UNUSED_PAD src0_sel:WORD_1 src1_sel:DWORD
	;; [unrolled: 1-line block ×3, first 2 shown]
	v_fma_f16 v25, v50, v30, -v31
	v_mul_f16_sdwa v32, v51, v34 dst_sel:DWORD dst_unused:UNUSED_PAD src0_sel:WORD_1 src1_sel:DWORD
	v_fma_f16 v27, v51, v34, -v35
	v_mul_f16_sdwa v34, v53, v38 dst_sel:DWORD dst_unused:UNUSED_PAD src0_sel:WORD_1 src1_sel:DWORD
	v_cvt_f32_f16_e32 v24, v24
	v_fmac_f16_e32 v58, v46, v12
	v_fmac_f16_e32 v33, v52, v13
	v_cvt_f64_f32_e32 v[12:13], v23
	v_fma_f16 v28, v52, v36, -v37
	v_fma_f16 v29, v53, v38, -v39
	v_mul_f16_sdwa v35, v54, v40 dst_sel:DWORD dst_unused:UNUSED_PAD src0_sel:WORD_1 src1_sel:DWORD
	v_fma_f16 v30, v54, v40, -v41
	v_mul_f16_sdwa v36, v55, v42 dst_sel:DWORD dst_unused:UNUSED_PAD src0_sel:WORD_1 src1_sel:DWORD
	v_fma_f16 v31, v55, v42, -v45
	v_cvt_f32_f16_e32 v25, v25
	v_fmac_f16_e32 v57, v44, v10
	v_fmac_f16_e32 v59, v47, v14
	;; [unrolled: 1-line block ×6, first 2 shown]
	v_cvt_f64_f32_e32 v[14:15], v24
	v_cvt_f32_f16_e32 v22, v22
	v_cvt_f32_f16_e32 v26, v26
	;; [unrolled: 1-line block ×8, first 2 shown]
	v_fmac_f16_e32 v35, v54, v17
	v_fmac_f16_e32 v36, v55, v19
	v_cvt_f64_f32_e32 v[16:17], v25
	v_cvt_f32_f16_e32 v38, v56
	v_cvt_f32_f16_e32 v39, v57
	;; [unrolled: 1-line block ×10, first 2 shown]
	v_cvt_f64_f32_e32 v[10:11], v22
	v_cvt_f64_f32_e32 v[18:19], v26
	;; [unrolled: 1-line block ×8, first 2 shown]
	v_cvt_f32_f16_e32 v52, v35
	v_cvt_f32_f16_e32 v54, v36
	v_cvt_f64_f32_e32 v[32:33], v38
	v_cvt_f64_f32_e32 v[34:35], v39
	;; [unrolled: 1-line block ×10, first 2 shown]
	v_mul_f64 v[8:9], v[8:9], s[0:1]
	v_cvt_f64_f32_e32 v[54:55], v54
	v_mul_f64 v[12:13], v[12:13], s[0:1]
	v_mul_f64 v[14:15], v[14:15], s[0:1]
	;; [unrolled: 1-line block ×20, first 2 shown]
	v_and_or_b32 v51, 0x1ff, v9, v8
	v_cvt_f64_f32_e32 v[52:53], v52
	v_mul_f64 v[60:61], v[54:55], s[0:1]
	v_and_or_b32 v54, 0x1ff, v13, v12
	v_mul_f64 v[10:11], v[10:11], s[0:1]
	v_cmp_ne_u32_e32 vcc_lo, 0, v51
	v_and_or_b32 v65, 0x1ff, v15, v14
	v_and_or_b32 v56, 0x1ff, v57, v56
	;; [unrolled: 1-line block ×4, first 2 shown]
	v_cndmask_b32_e64 v51, 0, 1, vcc_lo
	v_cmp_ne_u32_e32 vcc_lo, 0, v54
	v_and_or_b32 v86, 0x1ff, v28, v27
	v_and_or_b32 v75, 0x1ff, v22, v21
	;; [unrolled: 1-line block ×3, first 2 shown]
	v_lshrrev_b32_e32 v98, 8, v32
	v_cndmask_b32_e64 v54, 0, 1, vcc_lo
	v_cmp_ne_u32_e32 vcc_lo, 0, v65
	v_bfe_u32 v99, v32, 20, 11
	v_and_or_b32 v43, 0x1ff, v44, v43
	v_lshrrev_b32_e32 v110, 8, v44
	v_bfe_u32 v111, v44, 20, 11
	v_lshrrev_b32_e32 v27, 16, v44
	v_cndmask_b32_e64 v44, 0, 1, vcc_lo
	v_cmp_ne_u32_e32 vcc_lo, 0, v56
	v_mul_f64 v[49:50], v[52:53], s[0:1]
	v_lshrrev_b32_e32 v21, 16, v32
	v_and_or_b32 v32, 0x1ff, v46, v45
	v_and_or_b32 v53, 0x1ff, v11, v10
	v_cndmask_b32_e64 v45, 0, 1, vcc_lo
	v_cmp_ne_u32_e32 vcc_lo, 0, v69
	v_and_or_b32 v77, 0x1ff, v24, v23
	v_and_or_b32 v35, 0x1ff, v36, v35
	v_lshrrev_b32_e32 v102, 8, v36
	v_bfe_u32 v103, v36, 20, 11
	v_lshrrev_b32_e32 v23, 16, v36
	v_and_or_b32 v36, 0x1ff, v48, v47
	v_cndmask_b32_e64 v47, 0, 1, vcc_lo
	v_cmp_ne_u32_e32 vcc_lo, 0, v73
	v_lshrrev_b32_e32 v52, 8, v9
	v_bfe_u32 v62, v9, 20, 11
	v_and_or_b32 v83, 0x1ff, v26, v25
	v_and_or_b32 v95, 0x1ff, v30, v29
	;; [unrolled: 1-line block ×3, first 2 shown]
	v_lshrrev_b32_e32 v106, 8, v40
	v_bfe_u32 v107, v40, 20, 11
	v_lshrrev_b32_e32 v25, 16, v40
	v_lshrrev_b32_e32 v40, 8, v48
	v_bfe_u32 v113, v48, 20, 11
	v_lshrrev_b32_e32 v29, 16, v48
	v_cndmask_b32_e64 v48, 0, 1, vcc_lo
	v_cmp_ne_u32_e32 vcc_lo, 0, v53
	v_lshrrev_b32_e32 v68, 8, v57
	v_bfe_u32 v71, v57, 20, 11
	v_lshrrev_b32_e32 v14, 16, v57
	v_sub_nc_u32_e32 v57, 0x3f1, v62
	v_and_or_b32 v58, 0xffe, v52, v51
	v_cndmask_b32_e64 v117, 0, 1, vcc_lo
	v_cmp_ne_u32_e32 vcc_lo, 0, v75
	v_lshrrev_b32_e32 v55, 8, v13
	v_bfe_u32 v67, v13, 20, 11
	v_lshrrev_b32_e32 v74, 8, v20
	v_bfe_u32 v79, v20, 20, 11
	v_lshrrev_b32_e32 v12, 16, v20
	v_lshrrev_b32_e32 v96, 8, v30
	v_bfe_u32 v97, v30, 20, 11
	v_lshrrev_b32_e32 v20, 16, v30
	v_and_or_b32 v114, 0x1ff, v50, v49
	v_lshrrev_b32_e32 v115, 8, v50
	v_bfe_u32 v116, v50, 20, 11
	v_lshrrev_b32_e32 v30, 16, v50
	v_cndmask_b32_e64 v49, 0, 1, vcc_lo
	v_med3_i32 v50, v57, 0, 13
	v_or_b32_e32 v51, 0x1000, v58
	v_cmp_ne_u32_e32 vcc_lo, 0, v77
	v_lshrrev_b32_e32 v66, 8, v15
	v_bfe_u32 v70, v15, 20, 11
	v_lshrrev_b32_e32 v72, 8, v59
	v_bfe_u32 v78, v59, 20, 11
	v_and_or_b32 v89, 0x1ff, v17, v16
	v_lshrrev_b32_e32 v16, 16, v13
	v_lshrrev_b32_e32 v13, 16, v59
	v_sub_nc_u32_e32 v59, 0x3f1, v67
	v_and_or_b32 v55, 0xffe, v55, v54
	v_cndmask_b32_e64 v52, 0, 1, vcc_lo
	v_cmp_ne_u32_e32 vcc_lo, 0, v83
	v_lshrrev_b32_e32 v83, v50, v51
	v_lshrrev_b32_e32 v81, 8, v24
	v_sub_nc_u32_e32 v93, 0x3f1, v70
	v_and_or_b32 v56, 0xffe, v66, v44
	v_and_or_b32 v44, 0xffe, v68, v45
	v_cndmask_b32_e64 v53, 0, 1, vcc_lo
	v_cmp_ne_u32_e32 vcc_lo, 0, v86
	v_med3_i32 v59, v59, 0, 13
	v_lshlrev_b32_e32 v68, v50, v83
	v_or_b32_e32 v69, 0x1000, v55
	v_bfe_u32 v82, v24, 20, 11
	v_lshrrev_b32_e32 v84, 8, v26
	v_cndmask_b32_e64 v57, 0, 1, vcc_lo
	v_med3_i32 v66, v93, 0, 13
	v_and_or_b32 v50, 0xffe, v81, v52
	v_cmp_ne_u32_e32 vcc_lo, v68, v51
	v_or_b32_e32 v68, 0x1000, v56
	v_lshrrev_b32_e32 v81, v59, v69
	v_lshrrev_b32_e32 v87, 8, v28
	;; [unrolled: 1-line block ×3, first 2 shown]
	v_sub_nc_u32_e32 v94, 0x3f1, v71
	v_and_or_b32 v37, 0x1ff, v38, v37
	v_lshrrev_b32_e32 v104, 8, v38
	v_bfe_u32 v105, v38, 20, 11
	v_lshrrev_b32_e32 v24, 16, v38
	v_sub_nc_u32_e32 v38, 0x3f1, v78
	v_sub_nc_u32_e32 v54, 0x3f1, v82
	v_and_or_b32 v45, 0xffe, v72, v47
	v_and_or_b32 v51, 0xffe, v84, v53
	v_lshrrev_b32_e32 v84, v66, v68
	v_lshlrev_b32_e32 v53, v59, v81
	v_bfe_u32 v85, v26, 20, 11
	v_lshrrev_b32_e32 v18, 16, v9
	v_lshrrev_b32_e32 v9, 16, v26
	v_and_or_b32 v41, 0x1ff, v42, v41
	v_lshrrev_b32_e32 v108, 8, v42
	v_bfe_u32 v109, v42, 20, 11
	v_lshrrev_b32_e32 v26, 16, v42
	v_sub_nc_u32_e32 v42, 0x3f1, v79
	v_and_or_b32 v48, 0xffe, v74, v48
	v_med3_i32 v72, v94, 0, 13
	v_med3_i32 v38, v38, 0, 13
	v_and_or_b32 v52, 0xffe, v87, v57
	v_or_b32_e32 v57, 0x1000, v44
	v_med3_i32 v59, v54, 0, 13
	v_lshlrev_b32_e32 v54, v66, v84
	v_cmp_ne_u32_e64 s0, v53, v69
	v_or_b32_e32 v53, 0x1000, v45
	v_lshrrev_b32_e32 v76, 8, v22
	v_bfe_u32 v80, v22, 20, 11
	v_and_or_b32 v33, 0x1ff, v34, v33
	v_med3_i32 v42, v42, 0, 13
	v_lshrrev_b32_e32 v86, v72, v57
	v_cmp_ne_u32_e64 s1, v54, v68
	v_lshrrev_b32_e32 v87, v38, v53
	v_cmp_ne_u32_e64 s2, 0, v95
	v_or_b32_e32 v68, 0x1000, v48
	v_cmp_ne_u32_e64 s3, 0, v31
	v_lshrrev_b32_e32 v63, 8, v11
	v_bfe_u32 v64, v11, 20, 11
	v_bfe_u32 v88, v28, 20, 11
	v_lshrrev_b32_e32 v90, 8, v17
	v_bfe_u32 v91, v17, 20, 11
	v_lshrrev_b32_e32 v19, 16, v17
	v_lshrrev_b32_e32 v17, 16, v11
	;; [unrolled: 1-line block ×5, first 2 shown]
	v_bfe_u32 v101, v34, 20, 11
	v_lshrrev_b32_e32 v22, 16, v34
	v_lshrrev_b32_e32 v34, 8, v46
	v_bfe_u32 v112, v46, 20, 11
	v_lshrrev_b32_e32 v28, 16, v46
	v_sub_nc_u32_e32 v46, 0x3f1, v80
	v_and_or_b32 v49, 0xffe, v76, v49
	v_lshlrev_b32_e32 v54, v72, v86
	v_cndmask_b32_e64 v66, 0, 1, s2
	v_lshlrev_b32_e32 v38, v38, v87
	v_cndmask_b32_e64 v31, 0, 1, s3
	v_lshrrev_b32_e32 v93, v42, v68
	v_cmp_ne_u32_e64 s4, 0, v33
	v_sub_nc_u32_e32 v65, 0x3f1, v85
	v_sub_nc_u32_e32 v47, 0x3f1, v88
	v_med3_i32 v46, v46, 0, 13
	v_cmp_ne_u32_e64 s2, v54, v57
	v_cmp_ne_u32_e64 s3, v38, v53
	v_or_b32_e32 v72, 0x1000, v49
	v_and_or_b32 v53, 0xffe, v96, v66
	v_or_b32_e32 v66, 0x1000, v50
	v_lshlrev_b32_e32 v42, v42, v93
	v_and_or_b32 v54, 0xffe, v98, v31
	v_cndmask_b32_e64 v31, 0, 1, s4
	v_med3_i32 v65, v65, 0, 13
	v_med3_i32 v47, v47, 0, 13
	v_lshrrev_b32_e32 v94, v46, v72
	v_cmp_ne_u32_e64 s5, v42, v68
	v_lshrrev_b32_e32 v95, v59, v66
	v_or_b32_e32 v42, 0x1000, v51
	v_and_or_b32 v57, 0xffe, v100, v31
	v_or_b32_e32 v31, 0x1000, v52
	v_sub_nc_u32_e32 v69, 0x3f1, v97
	v_lshlrev_b32_e32 v33, v46, v94
	v_lshlrev_b32_e32 v46, v59, v95
	v_lshrrev_b32_e32 v96, v65, v42
	v_lshrrev_b32_e32 v98, v47, v31
	v_sub_nc_u32_e32 v38, 0x3f1, v99
	v_med3_i32 v59, v69, 0, 13
	v_cmp_ne_u32_e64 s7, v46, v66
	v_lshlrev_b32_e32 v46, v65, v96
	v_or_b32_e32 v65, 0x1000, v53
	v_cmp_ne_u32_e64 s4, 0, v35
	v_lshlrev_b32_e32 v47, v47, v98
	v_cmp_ne_u32_e64 s6, v33, v72
	v_sub_nc_u32_e32 v33, 0x3f1, v101
	v_lshrrev_b32_e32 v100, v59, v65
	v_cndmask_b32_e64 v35, 0, 1, s4
	v_med3_i32 v38, v38, 0, 13
	v_cmp_ne_u32_e64 s9, v47, v31
	v_or_b32_e32 v31, 0x1000, v54
	v_cmp_ne_u32_e64 s4, 0, v37
	v_cmp_ne_u32_e64 s8, v46, v42
	v_sub_nc_u32_e32 v42, 0x3f1, v103
	v_lshlrev_b32_e32 v46, v59, v100
	v_med3_i32 v33, v33, 0, 13
	v_cndmask_b32_e64 v37, 0, 1, s4
	v_or_b32_e32 v47, 0x1000, v57
	v_lshrrev_b32_e32 v118, v38, v31
	v_and_or_b32 v59, 0xffe, v102, v35
	v_cmp_ne_u32_e64 s10, v46, v65
	v_med3_i32 v35, v42, 0, 13
	v_lshrrev_b32_e32 v102, v33, v47
	v_lshlrev_b32_e32 v38, v38, v118
	v_and_or_b32 v65, 0xffe, v104, v37
	v_or_b32_e32 v37, 0x1000, v59
	v_cmp_ne_u32_e64 s4, 0, v39
	v_sub_nc_u32_e32 v46, 0x3f1, v105
	v_lshlrev_b32_e32 v33, v33, v102
	v_cmp_ne_u32_e64 s11, v38, v31
	v_lshrrev_b32_e32 v104, v35, v37
	v_cndmask_b32_e64 v38, 0, 1, s4
	v_med3_i32 v42, v46, 0, 13
	v_or_b32_e32 v31, 0x1000, v65
	v_cmp_ne_u32_e64 s12, v33, v47
	v_sub_nc_u32_e32 v33, 0x3f1, v107
	v_lshlrev_b32_e32 v35, v35, v104
	v_and_or_b32 v66, 0xffe, v106, v38
	v_lshrrev_b32_e32 v119, v42, v31
	v_cmp_ne_u32_e64 s4, 0, v41
	v_med3_i32 v33, v33, 0, 13
	v_cmp_ne_u32_e64 s14, v35, v37
	v_or_b32_e32 v35, 0x1000, v66
	v_lshlrev_b32_e32 v38, v42, v119
	v_cndmask_b32_e64 v41, 0, 1, s4
	v_cmp_ne_u32_e64 s4, 0, v89
	v_and_or_b32 v39, 0x1ff, v61, v60
	v_lshrrev_b32_e32 v106, v33, v35
	v_cmp_ne_u32_e64 s15, v38, v31
	v_sub_nc_u32_e32 v38, 0x3f1, v109
	v_and_or_b32 v69, 0xffe, v108, v41
	v_cndmask_b32_e64 v89, 0, 1, s4
	v_lshlrev_b32_e32 v33, v33, v106
	v_cmp_ne_u32_e64 s4, 0, v43
	v_med3_i32 v38, v38, 0, 13
	v_lshrrev_b32_e32 v37, 8, v61
	v_bfe_u32 v60, v61, 20, 11
	v_cmp_ne_u32_e64 s16, v33, v35
	v_or_b32_e32 v33, 0x1000, v69
	v_lshrrev_b32_e32 v31, 16, v61
	v_sub_nc_u32_e32 v61, 0x3f1, v91
	v_add_nc_u32_e32 v77, 0xfffffc10, v91
	v_cndmask_b32_e64 v35, 0, 1, s4
	v_lshrrev_b32_e32 v91, v38, v33
	v_cmp_ne_u32_e64 s4, 0, v32
	v_add_nc_u32_e32 v74, 0xfffffc10, v67
	v_sub_nc_u32_e32 v42, 0x3f1, v112
	v_and_or_b32 v68, 0xffe, v110, v35
	v_sub_nc_u32_e32 v35, 0x3f1, v111
	v_lshlrev_b32_e32 v38, v38, v91
	v_cndmask_b32_e64 v32, 0, 1, s4
	v_cmp_ne_u32_e64 s4, 0, v36
	v_sub_nc_u32_e32 v92, 0x3f1, v64
	v_med3_i32 v35, v35, 0, 13
	v_cmp_ne_u32_e64 s19, v38, v33
	v_or_b32_e32 v33, 0x1000, v68
	v_and_or_b32 v67, 0xffe, v34, v32
	v_med3_i32 v34, v42, 0, 13
	v_cndmask_b32_e64 v36, 0, 1, s4
	v_add_nc_u32_e32 v38, 0xfffffc10, v78
	v_lshrrev_b32_e32 v108, v35, v33
	v_add_nc_u32_e32 v47, 0xfffffc10, v85
	v_and_or_b32 v85, 0xffe, v63, v117
	v_cmp_ne_u32_e64 s4, 0, v114
	v_and_or_b32 v72, 0xffe, v40, v36
	v_lshlrev_b32_e32 v32, v35, v108
	v_or_b32_e32 v35, 0x1000, v67
	v_add_nc_u32_e32 v43, 0xfffffc10, v80
	v_cndmask_b32_e64 v40, 0, 1, s4
	v_cmp_ne_u32_e64 s4, 0, v39
	v_cmp_ne_u32_e64 s20, v32, v33
	v_lshrrev_b32_e32 v78, v34, v35
	v_add_nc_u32_e32 v32, 0xfffffc10, v88
	v_and_or_b32 v88, 0xffe, v90, v89
	v_sub_nc_u32_e32 v39, 0x3f1, v60
	v_med3_i32 v80, v92, 0, 13
	v_lshlrev_b32_e32 v34, v34, v78
	v_med3_i32 v61, v61, 0, 13
	v_or_b32_e32 v90, 0x1000, v88
	v_or_b32_e32 v92, 0x1000, v85
	v_add_nc_u32_e32 v76, 0xfffffc10, v62
	v_add_nc_u32_e32 v73, 0xfffffc10, v70
	v_cmp_ne_u32_e64 s13, v34, v35
	v_cndmask_b32_e64 v35, 0, 1, s4
	v_and_or_b32 v70, 0xffe, v115, v40
	v_med3_i32 v62, v39, 0, 13
	v_add_nc_u32_e32 v39, 0xfffffc10, v97
	v_add_nc_u32_e32 v40, 0xfffffc10, v99
	v_lshrrev_b32_e32 v97, v61, v90
	v_lshrrev_b32_e32 v99, v80, v92
	v_add_nc_u32_e32 v41, 0xfffffc10, v71
	v_and_or_b32 v71, 0xffe, v37, v35
	v_add_nc_u32_e32 v37, 0xfffffc10, v101
	v_lshlrev_b32_e32 v101, v61, v97
	v_lshlrev_b32_e32 v80, v80, v99
	v_sub_nc_u32_e32 v33, 0x3f1, v113
	v_add_nc_u32_e32 v75, 0xfffffc10, v64
	v_or_b32_e32 v36, 0x1000, v72
	v_cmp_ne_u32_e64 s21, v101, v90
	v_cndmask_b32_e64 v101, 0, 1, vcc_lo
	v_cmp_ne_u32_e32 vcc_lo, v80, v92
	v_lshl_or_b32 v80, v77, 12, v88
	v_med3_i32 v33, v33, 0, 13
	v_cndmask_b32_e64 v90, 0, 1, s21
	v_or_b32_e32 v83, v83, v101
	v_cndmask_b32_e64 v92, 0, 1, vcc_lo
	v_cndmask_b32_e64 v101, 0, 1, s1
	v_cmp_gt_i32_e32 vcc_lo, 1, v77
	v_or_b32_e32 v90, v97, v90
	v_sub_nc_u32_e32 v34, 0x3f1, v116
	v_or_b32_e32 v92, v99, v92
	v_cndmask_b32_e64 v99, 0, 1, s2
	v_or_b32_e32 v84, v84, v101
	v_cndmask_b32_e64 v101, 0, 1, s5
	v_cndmask_b32_e32 v80, v80, v90, vcc_lo
	v_cmp_gt_i32_e32 vcc_lo, 1, v76
	v_or_b32_e32 v86, v86, v99
	v_cndmask_b32_e64 v99, 0, 1, s6
	v_or_b32_e32 v93, v93, v101
	v_cndmask_b32_e64 v101, 0, 1, s8
	v_add_nc_u32_e32 v46, 0xfffffc10, v79
	v_lshrrev_b32_e32 v79, v33, v36
	v_or_b32_e32 v94, v94, v99
	v_cndmask_b32_e64 v99, 0, 1, s9
	v_or_b32_e32 v96, v96, v101
	v_lshl_or_b32 v101, v76, 12, v58
	v_med3_i32 v34, v34, 0, 13
	v_or_b32_e32 v35, 0x1000, v70
	v_cndmask_b32_e64 v97, 0, 1, s0
	v_or_b32_e32 v98, v98, v99
	v_lshl_or_b32 v99, v75, 12, v85
	v_cndmask_b32_e32 v101, v101, v83, vcc_lo
	v_cmp_gt_i32_e32 vcc_lo, 1, v75
	v_add_nc_u32_e32 v42, 0xfffffc10, v82
	v_lshlrev_b32_e32 v33, v33, v79
	v_lshrrev_b32_e32 v82, v34, v35
	v_or_b32_e32 v81, v81, v97
	v_cndmask_b32_e64 v90, 0, 1, s12
	v_lshl_or_b32 v83, v74, 12, v55
	v_cndmask_b32_e32 v92, v99, v92, vcc_lo
	v_cmp_gt_i32_e32 vcc_lo, 1, v74
	v_cmp_ne_u32_e64 s17, v33, v36
	v_lshlrev_b32_e32 v33, v34, v82
	v_add_nc_u32_e32 v34, 0xfffffc10, v103
	v_add_nc_u32_e32 v36, 0xfffffc10, v105
	v_cndmask_b32_e64 v103, 0, 1, s14
	v_or_b32_e32 v90, v102, v90
	v_lshl_or_b32 v102, v73, 12, v56
	v_cndmask_b32_e32 v105, v83, v81, vcc_lo
	v_cmp_gt_i32_e32 vcc_lo, 1, v73
	v_cndmask_b32_e64 v97, 0, 1, s3
	v_cndmask_b32_e64 v99, 0, 1, s15
	v_or_b32_e32 v103, v104, v103
	v_lshl_or_b32 v104, v41, 12, v44
	v_cndmask_b32_e32 v102, v102, v84, vcc_lo
	v_cmp_gt_i32_e32 vcc_lo, 1, v41
	v_or_b32_e32 v87, v87, v97
	v_cndmask_b32_e64 v81, 0, 1, s16
	v_or_b32_e32 v83, v119, v99
	v_lshl_or_b32 v99, v38, 12, v45
	v_cndmask_b32_e32 v86, v104, v86, vcc_lo
	v_cmp_gt_i32_e32 vcc_lo, 1, v38
	v_cndmask_b32_e64 v84, 0, 1, s19
	v_or_b32_e32 v81, v106, v81
	v_lshl_or_b32 v106, v46, 12, v48
	v_cndmask_b32_e64 v97, 0, 1, s7
	v_cndmask_b32_e32 v87, v99, v87, vcc_lo
	v_cmp_gt_i32_e32 vcc_lo, 1, v46
	v_or_b32_e32 v84, v91, v84
	v_lshl_or_b32 v91, v43, 12, v49
	v_or_b32_e32 v63, 0x1000, v71
	v_or_b32_e32 v95, v95, v97
	v_cndmask_b32_e32 v93, v106, v93, vcc_lo
	v_cmp_gt_i32_e32 vcc_lo, 1, v43
	v_lshl_or_b32 v99, v42, 12, v50
	v_lshrrev_b32_e32 v89, v62, v63
	v_cmp_ne_u32_e64 s18, v33, v35
	v_add_nc_u32_e32 v33, 0xfffffc10, v107
	v_cndmask_b32_e32 v91, v91, v94, vcc_lo
	v_cmp_gt_i32_e32 vcc_lo, 1, v42
	v_cndmask_b32_e64 v107, 0, 1, s13
	v_cndmask_b32_e64 v106, 0, 1, s17
	v_lshl_or_b32 v94, v47, 12, v51
	v_lshlrev_b32_e32 v62, v62, v89
	v_cndmask_b32_e32 v95, v99, v95, vcc_lo
	v_cmp_gt_i32_e32 vcc_lo, 1, v47
	v_cndmask_b32_e64 v97, 0, 1, s10
	v_or_b32_e32 v78, v78, v107
	v_cndmask_b32_e64 v107, 0, 1, s18
	v_or_b32_e32 v79, v79, v106
	v_lshl_or_b32 v106, v32, 12, v52
	v_cndmask_b32_e32 v94, v94, v96, vcc_lo
	v_cmp_gt_i32_e32 vcc_lo, 1, v32
	v_cmp_ne_u32_e64 s4, v62, v63
	v_or_b32_e32 v97, v100, v97
	v_cndmask_b32_e64 v100, 0, 1, s11
	v_or_b32_e32 v82, v82, v107
	v_lshl_or_b32 v107, v39, 12, v53
	v_cndmask_b32_e32 v98, v106, v98, vcc_lo
	v_cmp_gt_i32_e32 vcc_lo, 1, v39
	v_or_b32_e32 v100, v118, v100
	v_cndmask_b32_e64 v99, 0, 1, s4
	v_lshl_or_b32 v96, v40, 12, v54
	v_lshl_or_b32 v106, v34, 12, v59
	v_cndmask_b32_e32 v97, v107, v97, vcc_lo
	v_cmp_gt_i32_e32 vcc_lo, 1, v40
	v_or_b32_e32 v89, v89, v99
	v_lshl_or_b32 v99, v37, 12, v57
	v_lshl_or_b32 v107, v36, 12, v65
	v_add_nc_u32_e32 v35, 0xfffffc10, v109
	v_cndmask_b32_e32 v96, v96, v100, vcc_lo
	v_cmp_gt_i32_e32 vcc_lo, 1, v37
	v_lshl_or_b32 v100, v33, 12, v66
	v_add_nc_u32_e32 v64, 0xfffffc10, v111
	v_cndmask_b32_e64 v104, 0, 1, s20
	v_add_nc_u32_e32 v63, 0xfffffc10, v112
	v_cndmask_b32_e32 v90, v99, v90, vcc_lo
	v_cmp_gt_i32_e32 vcc_lo, 1, v34
	v_lshl_or_b32 v99, v35, 12, v69
	v_or_b32_e32 v104, v108, v104
	v_add_nc_u32_e32 v62, 0xfffffc10, v113
	v_add_nc_u32_e32 v61, 0xfffffc10, v116
	v_cndmask_b32_e32 v103, v106, v103, vcc_lo
	v_cmp_gt_i32_e32 vcc_lo, 1, v36
	v_lshl_or_b32 v106, v64, 12, v68
	v_add_nc_u32_e32 v60, 0xfffffc10, v60
	v_cmp_ne_u32_e64 s21, 0, v88
	v_cmp_gt_i32_e64 s46, 31, v77
	v_cndmask_b32_e32 v107, v107, v83, vcc_lo
	v_cmp_gt_i32_e32 vcc_lo, 1, v33
	v_lshl_or_b32 v83, v63, 12, v67
	v_lshrrev_b32_e32 v15, 16, v15
	v_cndmask_b32_e32 v100, v100, v81, vcc_lo
	v_cmp_gt_i32_e32 vcc_lo, 1, v35
	v_lshl_or_b32 v81, v62, 12, v72
	v_cndmask_b32_e32 v99, v99, v84, vcc_lo
	v_cmp_gt_i32_e32 vcc_lo, 1, v64
	v_lshl_or_b32 v84, v61, 12, v70
	;; [unrolled: 3-line block ×3, first 2 shown]
	v_cndmask_b32_e32 v108, v83, v78, vcc_lo
	v_cmp_gt_i32_e32 vcc_lo, 1, v62
	v_and_b32_e32 v78, 7, v80
	v_cndmask_b32_e64 v83, 0, 1, s21
	v_lshrrev_b32_e32 v80, 2, v80
	v_cndmask_b32_e32 v109, v81, v79, vcc_lo
	v_cmp_gt_i32_e32 vcc_lo, 1, v61
	v_and_b32_e32 v79, 7, v101
	v_and_b32_e32 v81, 7, v92
	v_cmp_lt_i32_e64 s31, 5, v78
	v_cmp_eq_u32_e64 s33, 3, v78
	v_cndmask_b32_e32 v110, v84, v82, vcc_lo
	v_and_b32_e32 v82, 7, v105
	v_and_b32_e32 v78, 7, v102
	v_cmp_lt_i32_e64 s38, 5, v79
	v_cmp_eq_u32_e64 s39, 3, v79
	v_and_b32_e32 v79, 7, v86
	v_cmp_lt_i32_e64 s42, 5, v82
	v_cmp_eq_u32_e64 s43, 3, v82
	v_and_b32_e32 v82, 7, v93
	v_cmp_lt_i32_e64 s40, 5, v81
	v_cmp_eq_u32_e64 s41, 3, v81
	v_and_b32_e32 v81, 7, v87
	v_cmp_lt_i32_e64 s44, 5, v78
	v_cmp_eq_u32_e64 s45, 3, v78
	v_and_b32_e32 v78, 7, v91
	v_cmp_lt_i32_e64 s11, 5, v82
	v_cmp_eq_u32_e64 s12, 3, v82
	v_and_b32_e32 v82, 7, v98
	v_cmp_lt_i32_e64 s7, 5, v79
	v_cmp_eq_u32_e64 s8, 3, v79
	v_and_b32_e32 v79, 7, v95
	v_cmp_lt_i32_e64 s9, 5, v81
	v_cmp_eq_u32_e64 s10, 3, v81
	v_and_b32_e32 v81, 7, v94
	v_cmp_gt_i32_e32 vcc_lo, 1, v60
	v_cmp_lt_i32_e64 s13, 5, v78
	v_cmp_eq_u32_e64 s16, 3, v78
	v_and_b32_e32 v78, 7, v97
	v_cmp_lt_i32_e64 s19, 5, v82
	v_cmp_eq_u32_e64 s20, 3, v82
	v_and_b32_e32 v82, 7, v103
	;; [unrolled: 3-line block ×4, first 2 shown]
	v_cndmask_b32_e32 v89, v106, v89, vcc_lo
	v_cmp_lt_i32_e32 vcc_lo, 5, v78
	v_cmp_eq_u32_e64 s1, 3, v78
	v_add_co_u32 v78, s3, v6, s47
	v_cmp_lt_i32_e64 s5, 5, v82
	v_cmp_eq_u32_e64 s6, 3, v82
	v_and_b32_e32 v82, 7, v100
	v_cmp_lt_i32_e64 s0, 5, v79
	v_cmp_eq_u32_e64 s2, 3, v79
	v_add_co_ci_u32_e64 v79, s3, s50, v7, s3
	v_cmp_lt_i32_e64 s3, 5, v81
	v_cmp_eq_u32_e64 s4, 3, v81
	v_and_b32_e32 v81, 7, v107
	v_cmp_lt_i32_e64 s23, 5, v82
	v_cmp_eq_u32_e64 s24, 3, v82
	v_and_b32_e32 v82, 7, v104
	s_or_b32 s31, s33, s31
	v_cmp_lt_i32_e64 s29, 5, v81
	v_cmp_eq_u32_e64 s30, 3, v81
	v_and_b32_e32 v81, 7, v99
	v_cmp_lt_i32_e64 s21, 5, v82
	v_cmp_eq_u32_e64 s22, 3, v82
	v_and_b32_e32 v82, 7, v109
	v_add_co_ci_u32_e64 v80, s31, 0, v80, s31
	v_cmp_lt_i32_e64 s26, 5, v81
	v_cmp_eq_u32_e64 s28, 3, v81
	v_and_b32_e32 v81, 7, v108
	v_cmp_lt_i32_e64 s36, 5, v82
	v_cmp_eq_u32_e64 s37, 3, v82
	v_and_b32_e32 v82, 7, v89
	v_lshl_or_b32 v83, v83, 9, 0x7c00
	v_cmp_lt_i32_e64 s25, 5, v81
	v_cmp_eq_u32_e64 s27, 3, v81
	v_and_b32_e32 v81, 7, v110
	v_cmp_lt_i32_e64 s34, 5, v82
	v_cmp_eq_u32_e64 s35, 3, v82
	v_cndmask_b32_e64 v82, 0x7c00, v80, s46
	v_add_co_u32 v80, s46, v78, s47
	v_cmp_lt_i32_e64 s31, 5, v81
	v_cmp_eq_u32_e64 s33, 3, v81
	v_add_co_ci_u32_e64 v81, s46, s50, v79, s46
	v_cmp_eq_u32_e64 s46, 0x40f, v77
	v_lshrrev_b32_e32 v84, 2, v101
	s_or_b32 s38, s39, s38
	v_lshrrev_b32_e32 v101, 2, v102
	v_lshrrev_b32_e32 v86, 2, v86
	v_cndmask_b32_e64 v88, v82, v83, s46
	s_mul_i32 s46, s49, 0xffffddd4
	v_mad_u64_u32 v[82:83], null, 0xffffddd4, s48, v[80:81]
	s_sub_i32 s48, s46, s48
	v_cmp_ne_u32_e64 s46, 0, v58
	v_add_co_ci_u32_e64 v84, s38, 0, v84, s38
	s_or_b32 s38, s41, s40
	v_lshrrev_b32_e32 v97, 2, v97
	v_cndmask_b32_e64 v58, 0, 1, s46
	v_cmp_ne_u32_e64 s46, 0, v85
	v_lshrrev_b32_e32 v85, 2, v92
	v_add_nc_u32_e32 v83, s48, v83
	v_lshrrev_b32_e32 v87, 2, v87
	v_lshl_or_b32 v58, v58, 9, 0x7c00
	v_cndmask_b32_e64 v77, 0, 1, s46
	v_add_co_ci_u32_e64 v85, s38, 0, v85, s38
	v_cmp_gt_i32_e64 s38, 31, v76
	s_or_b32 s7, s8, s7
	v_lshl_or_b32 v92, v77, 9, 0x7c00
	v_lshrrev_b32_e32 v96, 2, v96
	v_add_co_ci_u32_e64 v86, s7, 0, v86, s7
	v_cndmask_b32_e64 v84, 0x7c00, v84, s38
	v_cmp_gt_i32_e64 s38, 31, v75
	s_or_b32 vcc_lo, s1, vcc_lo
	v_lshrrev_b32_e32 v93, 2, v93
	s_or_b32 s7, s10, s9
	v_add_co_ci_u32_e32 v97, vcc_lo, 0, v97, vcc_lo
	v_cndmask_b32_e64 v85, 0x7c00, v85, s38
	v_cmp_eq_u32_e64 s38, 0x40f, v76
	v_lshrrev_b32_e32 v90, 2, v90
	v_add_co_ci_u32_e64 v87, s7, 0, v87, s7
	s_or_b32 vcc_lo, s2, s0
	v_cndmask_b32_e64 v58, v84, v58, s38
	v_add_co_u32 v76, s38, v82, s47
	v_add_co_ci_u32_e64 v77, s38, s50, v83, s38
	v_cmp_ne_u32_e64 s38, 0, v55
	v_lshrrev_b32_e32 v91, 2, v91
	s_or_b32 s7, s12, s11
	v_add_co_ci_u32_e32 v96, vcc_lo, 0, v96, vcc_lo
	v_cndmask_b32_e64 v55, 0, 1, s38
	v_cmp_eq_u32_e64 s38, 0x40f, v75
	v_lshrrev_b32_e32 v103, 2, v103
	v_add_co_ci_u32_e64 v93, s7, 0, v93, s7
	v_lshl_or_b32 v55, v55, 9, 0x7c00
	v_cndmask_b32_e64 v75, v85, v92, s38
	v_add_co_u32 v84, s38, v76, s47
	v_add_co_ci_u32_e64 v85, s38, s50, v77, s38
	v_cmp_ne_u32_e64 s38, 0, v56
	v_lshrrev_b32_e32 v92, 2, v105
	s_or_b32 vcc_lo, s4, s3
	v_lshrrev_b32_e32 v95, 2, v95
	s_or_b32 s7, s16, s13
	v_cndmask_b32_e64 v56, 0, 1, s38
	s_or_b32 s38, s43, s42
	v_add_co_ci_u32_e32 v90, vcc_lo, 0, v90, vcc_lo
	v_add_co_ci_u32_e64 v92, s38, 0, v92, s38
	s_or_b32 s38, s45, s44
	v_lshl_or_b32 v102, v56, 9, 0x7c00
	v_add_co_ci_u32_e64 v101, s38, 0, v101, s38
	v_cmp_gt_i32_e64 s38, 31, v74
	v_lshrrev_b32_e32 v104, 2, v104
	v_add_co_ci_u32_e64 v91, s7, 0, v91, s7
	s_or_b32 vcc_lo, s6, s5
	v_cndmask_b32_e64 v92, 0x7c00, v92, s38
	v_cmp_gt_i32_e64 s38, 31, v73
	v_lshrrev_b32_e32 v94, 2, v94
	s_or_b32 s7, s17, s14
	v_add_co_ci_u32_e32 v103, vcc_lo, 0, v103, vcc_lo
	v_cndmask_b32_e64 v101, 0x7c00, v101, s38
	v_cmp_eq_u32_e64 s38, 0x40f, v74
	v_lshrrev_b32_e32 v106, 2, v108
	v_add_co_ci_u32_e64 v95, s7, 0, v95, s7
	s_or_b32 vcc_lo, s22, s21
	v_cndmask_b32_e64 v92, v92, v55, s38
	v_add_co_u32 v55, s38, v84, s47
	v_add_co_ci_u32_e64 v56, s38, s50, v85, s38
	v_cmp_eq_u32_e64 s38, 0x40f, v73
	v_lshrrev_b32_e32 v98, 2, v98
	s_or_b32 s7, s18, s15
	v_add_co_ci_u32_e32 v104, vcc_lo, 0, v104, vcc_lo
	v_cndmask_b32_e64 v101, v101, v102, s38
	v_add_co_u32 v73, s38, v55, s47
	v_add_co_ci_u32_e64 v74, s38, s50, v56, s38
	v_cmp_ne_u32_e64 s38, 0, v44
	v_lshrrev_b32_e32 v102, 2, v107
	v_lshrrev_b32_e32 v107, 2, v110
	v_add_co_ci_u32_e64 v94, s7, 0, v94, s7
	s_or_b32 vcc_lo, s27, s25
	s_or_b32 s7, s20, s19
	v_add_co_ci_u32_e32 v106, vcc_lo, 0, v106, vcc_lo
	v_lshrrev_b32_e32 v89, 2, v89
	v_add_co_ci_u32_e64 v98, s7, 0, v98, s7
	s_or_b32 vcc_lo, s33, s31
	v_cndmask_b32_e64 v44, 0, 1, s38
	v_cmp_ne_u32_e64 s38, 0, v45
	v_cmp_gt_i32_e64 s7, 31, v41
	v_add_co_ci_u32_e32 v107, vcc_lo, 0, v107, vcc_lo
	s_or_b32 vcc_lo, s35, s34
	v_cndmask_b32_e64 v45, 0, 1, s38
	v_add_co_ci_u32_e32 v89, vcc_lo, 0, v89, vcc_lo
	v_cmp_ne_u32_e64 s38, 0, v48
	v_lshl_or_b32 v44, v44, 9, 0x7c00
	v_cndmask_b32_e64 v86, 0x7c00, v86, s7
	v_cmp_gt_i32_e64 s7, 31, v38
	v_cmp_eq_u32_e32 vcc_lo, 0x40f, v41
	v_cndmask_b32_e64 v48, 0, 1, s38
	v_cmp_ne_u32_e64 s38, 0, v49
	v_lshl_or_b32 v45, v45, 9, 0x7c00
	v_cndmask_b32_e64 v87, 0x7c00, v87, s7
	v_cmp_gt_i32_e64 s7, 31, v46
	v_cndmask_b32_e32 v41, v86, v44, vcc_lo
	v_cmp_eq_u32_e32 vcc_lo, 0x40f, v38
	v_cndmask_b32_e64 v49, 0, 1, s38
	v_cmp_ne_u32_e64 s38, 0, v50
	v_lshl_or_b32 v48, v48, 9, 0x7c00
	v_cndmask_b32_e64 v93, 0x7c00, v93, s7
	v_cmp_gt_i32_e64 s7, 31, v43
	v_cndmask_b32_e32 v38, v87, v45, vcc_lo
	;; [unrolled: 7-line block ×3, first 2 shown]
	v_cmp_eq_u32_e32 vcc_lo, 0x40f, v43
	v_cndmask_b32_e64 v51, 0, 1, s38
	v_lshl_or_b32 v50, v50, 9, 0x7c00
	v_cndmask_b32_e64 v95, 0x7c00, v95, s7
	v_cmp_gt_i32_e64 s7, 31, v47
	v_cndmask_b32_e32 v43, v91, v49, vcc_lo
	v_cmp_eq_u32_e32 vcc_lo, 0x40f, v42
	v_lshl_or_b32 v51, v51, 9, 0x7c00
	v_lshrrev_b32_e32 v100, 2, v100
	v_cndmask_b32_e64 v94, 0x7c00, v94, s7
	s_or_b32 s7, s30, s29
	v_cndmask_b32_e32 v42, v95, v50, vcc_lo
	v_cmp_eq_u32_e32 vcc_lo, 0x40f, v47
	v_add_co_ci_u32_e64 v102, s7, 0, v102, s7
	s_or_b32 s7, s24, s23
	v_lshrrev_b32_e32 v99, 2, v99
	v_cndmask_b32_e32 v45, v94, v51, vcc_lo
	v_cmp_gt_i32_e32 vcc_lo, 31, v36
	v_add_co_ci_u32_e64 v100, s7, 0, v100, s7
	s_or_b32 s7, s28, s26
	v_lshrrev_b32_e32 v105, 2, v109
	v_cndmask_b32_e32 v46, 0x7c00, v102, vcc_lo
	v_cmp_gt_i32_e32 vcc_lo, 31, v33
	v_cmp_ne_u32_e64 s38, 0, v52
	v_add_co_ci_u32_e64 v99, s7, 0, v99, s7
	s_or_b32 s7, s37, s36
	v_cndmask_b32_e32 v47, 0x7c00, v100, vcc_lo
	v_cmp_gt_i32_e32 vcc_lo, 31, v35
	v_add_co_ci_u32_e64 v105, s7, 0, v105, s7
	v_cndmask_b32_e64 v52, 0, 1, s38
	v_cmp_gt_i32_e64 s7, 31, v32
	v_cndmask_b32_e32 v48, 0x7c00, v99, vcc_lo
	v_cmp_gt_i32_e32 vcc_lo, 31, v62
	v_cmp_ne_u32_e64 s38, 0, v65
	v_lshl_or_b32 v52, v52, 9, 0x7c00
	v_cndmask_b32_e64 v98, 0x7c00, v98, s7
	v_and_or_b32 v13, 0x8000, v13, v38
	v_cndmask_b32_e32 v49, 0x7c00, v105, vcc_lo
	v_cmp_eq_u32_e32 vcc_lo, 0x40f, v32
	v_cndmask_b32_e64 v65, 0, 1, s38
	v_cmp_ne_u32_e64 s38, 0, v66
	v_and_or_b32 v14, 0x8000, v14, v41
	v_and_or_b32 v11, 0x8000, v11, v43
	v_cndmask_b32_e32 v32, v98, v52, vcc_lo
	v_cmp_gt_i32_e32 vcc_lo, 31, v39
	v_cndmask_b32_e64 v66, 0, 1, s38
	v_cmp_ne_u32_e64 s38, 0, v69
	v_lshl_or_b32 v65, v65, 9, 0x7c00
	v_and_or_b32 v10, 0x8000, v10, v42
	v_cndmask_b32_e32 v50, 0x7c00, v97, vcc_lo
	v_cmp_gt_i32_e32 vcc_lo, 31, v40
	v_cndmask_b32_e64 v69, 0, 1, s38
	v_cmp_ne_u32_e64 s38, 0, v72
	v_lshl_or_b32 v66, v66, 9, 0x7c00
	v_and_or_b32 v12, 0x8000, v12, v44
	v_cndmask_b32_e32 v51, 0x7c00, v96, vcc_lo
	v_cmp_gt_i32_e32 vcc_lo, 31, v37
	v_cndmask_b32_e64 v72, 0, 1, s38
	v_cmp_ne_u32_e64 s38, 0, v53
	v_lshl_or_b32 v69, v69, 9, 0x7c00
	v_and_or_b32 v19, 0x8000, v19, v88
	v_cndmask_b32_e32 v52, 0x7c00, v90, vcc_lo
	v_cmp_gt_i32_e32 vcc_lo, 31, v34
	v_cndmask_b32_e64 v53, 0, 1, s38
	v_cmp_ne_u32_e64 s38, 0, v54
	v_lshl_or_b32 v72, v72, 9, 0x7c00
	v_and_or_b32 v18, 0x8000, v18, v58
	v_cndmask_b32_e32 v86, 0x7c00, v103, vcc_lo
	v_cmp_gt_i32_e32 vcc_lo, 31, v64
	v_cndmask_b32_e64 v54, 0, 1, s38
	v_cmp_ne_u32_e64 s38, 0, v57
	v_lshl_or_b32 v53, v53, 9, 0x7c00
	v_and_or_b32 v17, 0x8000, v17, v75
	v_cndmask_b32_e32 v87, 0x7c00, v104, vcc_lo
	v_cmp_gt_i32_e32 vcc_lo, 31, v63
	v_cndmask_b32_e64 v57, 0, 1, s38
	v_cmp_ne_u32_e64 s38, 0, v59
	v_lshl_or_b32 v54, v54, 9, 0x7c00
	v_and_or_b32 v16, 0x8000, v16, v92
	v_cndmask_b32_e32 v90, 0x7c00, v106, vcc_lo
	v_cmp_gt_i32_e32 vcc_lo, 31, v61
	v_cndmask_b32_e64 v59, 0, 1, s38
	v_lshl_or_b32 v57, v57, 9, 0x7c00
	v_cmp_ne_u32_e64 s38, 0, v68
	v_and_or_b32 v15, 0x8000, v15, v101
	v_cndmask_b32_e32 v91, 0x7c00, v107, vcc_lo
	v_cmp_gt_i32_e32 vcc_lo, 31, v60
	v_lshl_or_b32 v59, v59, 9, 0x7c00
	v_cndmask_b32_e64 v68, 0, 1, s38
	v_cmp_ne_u32_e64 s38, 0, v67
	v_and_or_b32 v9, 0x8000, v9, v45
	v_cndmask_b32_e32 v89, 0x7c00, v89, vcc_lo
	v_cmp_eq_u32_e32 vcc_lo, 0x40f, v39
	v_lshl_or_b32 v68, v68, 9, 0x7c00
	v_cndmask_b32_e64 v67, 0, 1, s38
	v_cmp_ne_u32_e64 s38, 0, v70
	v_and_or_b32 v8, 0x8000, v8, v32
	v_cndmask_b32_e32 v39, v50, v53, vcc_lo
	v_cmp_eq_u32_e32 vcc_lo, 0x40f, v40
	;; [unrolled: 6-line block ×3, first 2 shown]
	v_lshl_or_b32 v70, v70, 9, 0x7c00
	v_cndmask_b32_e64 v71, 0, 1, s38
	v_and_b32_e32 v20, 0xffff, v20
	v_and_or_b32 v21, 0x8000, v21, v40
	v_cndmask_b32_e32 v37, v52, v57, vcc_lo
	v_cmp_eq_u32_e32 vcc_lo, 0x40f, v34
	v_lshl_or_b32 v71, v71, 9, 0x7c00
	v_lshl_or_b32 v19, v19, 16, v20
	v_and_b32_e32 v21, 0xffff, v21
	v_and_or_b32 v22, 0x8000, v22, v37
	v_cndmask_b32_e32 v34, v86, v59, vcc_lo
	v_cmp_eq_u32_e32 vcc_lo, 0x40f, v36
	v_lshl_or_b32 v18, v18, 16, v21
	v_and_b32_e32 v22, 0xffff, v22
	v_and_or_b32 v23, 0x8000, v23, v34
	v_cndmask_b32_e32 v36, v46, v65, vcc_lo
	v_cmp_eq_u32_e32 vcc_lo, 0x40f, v33
	;; [unrolled: 5-line block ×7, first 2 shown]
	global_store_dword v[0:1], v19, off
	global_store_dword v[2:3], v18, off
	;; [unrolled: 1-line block ×7, first 2 shown]
	v_lshl_or_b32 v12, v12, 16, v27
	v_and_b32_e32 v28, 0xffff, v28
	v_and_or_b32 v29, 0x8000, v29, v43
	v_cndmask_b32_e32 v42, v91, v70, vcc_lo
	v_cmp_eq_u32_e32 vcc_lo, 0x40f, v60
	v_lshl_or_b32 v11, v11, 16, v28
	v_and_b32_e32 v29, 0xffff, v29
	v_and_or_b32 v30, 0x8000, v30, v42
	v_cndmask_b32_e32 v44, v89, v71, vcc_lo
	v_add_co_u32 v0, vcc_lo, v73, s47
	v_lshl_or_b32 v10, v10, 16, v29
	v_and_b32_e32 v30, 0xffff, v30
	v_and_or_b32 v31, 0x8000, v31, v44
	v_add_co_ci_u32_e32 v1, vcc_lo, s50, v74, vcc_lo
	v_lshl_or_b32 v9, v9, 16, v30
	v_and_b32_e32 v31, 0xffff, v31
	v_lshl_or_b32 v8, v8, 16, v31
	global_store_dword v[76:77], v12, off
	global_store_dword v[84:85], v11, off
	;; [unrolled: 1-line block ×5, first 2 shown]
.LBB0_2:
	s_endpgm
	.section	.rodata,"a",@progbits
	.p2align	6, 0x0
	.amdhsa_kernel bluestein_single_back_len2916_dim1_half_op_CI_CI
		.amdhsa_group_segment_fixed_size 11664
		.amdhsa_private_segment_fixed_size 0
		.amdhsa_kernarg_size 104
		.amdhsa_user_sgpr_count 6
		.amdhsa_user_sgpr_private_segment_buffer 1
		.amdhsa_user_sgpr_dispatch_ptr 0
		.amdhsa_user_sgpr_queue_ptr 0
		.amdhsa_user_sgpr_kernarg_segment_ptr 1
		.amdhsa_user_sgpr_dispatch_id 0
		.amdhsa_user_sgpr_flat_scratch_init 0
		.amdhsa_user_sgpr_private_segment_size 0
		.amdhsa_wavefront_size32 1
		.amdhsa_uses_dynamic_stack 0
		.amdhsa_system_sgpr_private_segment_wavefront_offset 0
		.amdhsa_system_sgpr_workgroup_id_x 1
		.amdhsa_system_sgpr_workgroup_id_y 0
		.amdhsa_system_sgpr_workgroup_id_z 0
		.amdhsa_system_sgpr_workgroup_info 0
		.amdhsa_system_vgpr_workitem_id 0
		.amdhsa_next_free_vgpr 120
		.amdhsa_next_free_sgpr 52
		.amdhsa_reserve_vcc 1
		.amdhsa_reserve_flat_scratch 0
		.amdhsa_float_round_mode_32 0
		.amdhsa_float_round_mode_16_64 0
		.amdhsa_float_denorm_mode_32 3
		.amdhsa_float_denorm_mode_16_64 3
		.amdhsa_dx10_clamp 1
		.amdhsa_ieee_mode 1
		.amdhsa_fp16_overflow 0
		.amdhsa_workgroup_processor_mode 1
		.amdhsa_memory_ordered 1
		.amdhsa_forward_progress 0
		.amdhsa_shared_vgpr_count 0
		.amdhsa_exception_fp_ieee_invalid_op 0
		.amdhsa_exception_fp_denorm_src 0
		.amdhsa_exception_fp_ieee_div_zero 0
		.amdhsa_exception_fp_ieee_overflow 0
		.amdhsa_exception_fp_ieee_underflow 0
		.amdhsa_exception_fp_ieee_inexact 0
		.amdhsa_exception_int_div_zero 0
	.end_amdhsa_kernel
	.text
.Lfunc_end0:
	.size	bluestein_single_back_len2916_dim1_half_op_CI_CI, .Lfunc_end0-bluestein_single_back_len2916_dim1_half_op_CI_CI
                                        ; -- End function
	.section	.AMDGPU.csdata,"",@progbits
; Kernel info:
; codeLenInByte = 20900
; NumSgprs: 54
; NumVgprs: 120
; ScratchSize: 0
; MemoryBound: 0
; FloatMode: 240
; IeeeMode: 1
; LDSByteSize: 11664 bytes/workgroup (compile time only)
; SGPRBlocks: 6
; VGPRBlocks: 14
; NumSGPRsForWavesPerEU: 54
; NumVGPRsForWavesPerEU: 120
; Occupancy: 8
; WaveLimiterHint : 1
; COMPUTE_PGM_RSRC2:SCRATCH_EN: 0
; COMPUTE_PGM_RSRC2:USER_SGPR: 6
; COMPUTE_PGM_RSRC2:TRAP_HANDLER: 0
; COMPUTE_PGM_RSRC2:TGID_X_EN: 1
; COMPUTE_PGM_RSRC2:TGID_Y_EN: 0
; COMPUTE_PGM_RSRC2:TGID_Z_EN: 0
; COMPUTE_PGM_RSRC2:TIDIG_COMP_CNT: 0
	.text
	.p2alignl 6, 3214868480
	.fill 48, 4, 3214868480
	.type	__hip_cuid_be9ce119a55c2e9e,@object ; @__hip_cuid_be9ce119a55c2e9e
	.section	.bss,"aw",@nobits
	.globl	__hip_cuid_be9ce119a55c2e9e
__hip_cuid_be9ce119a55c2e9e:
	.byte	0                               ; 0x0
	.size	__hip_cuid_be9ce119a55c2e9e, 1

	.ident	"AMD clang version 19.0.0git (https://github.com/RadeonOpenCompute/llvm-project roc-6.4.0 25133 c7fe45cf4b819c5991fe208aaa96edf142730f1d)"
	.section	".note.GNU-stack","",@progbits
	.addrsig
	.addrsig_sym __hip_cuid_be9ce119a55c2e9e
	.amdgpu_metadata
---
amdhsa.kernels:
  - .args:
      - .actual_access:  read_only
        .address_space:  global
        .offset:         0
        .size:           8
        .value_kind:     global_buffer
      - .actual_access:  read_only
        .address_space:  global
        .offset:         8
        .size:           8
        .value_kind:     global_buffer
      - .actual_access:  read_only
        .address_space:  global
        .offset:         16
        .size:           8
        .value_kind:     global_buffer
      - .actual_access:  read_only
        .address_space:  global
        .offset:         24
        .size:           8
        .value_kind:     global_buffer
      - .actual_access:  read_only
        .address_space:  global
        .offset:         32
        .size:           8
        .value_kind:     global_buffer
      - .offset:         40
        .size:           8
        .value_kind:     by_value
      - .address_space:  global
        .offset:         48
        .size:           8
        .value_kind:     global_buffer
      - .address_space:  global
        .offset:         56
        .size:           8
        .value_kind:     global_buffer
      - .address_space:  global
        .offset:         64
        .size:           8
        .value_kind:     global_buffer
      - .address_space:  global
        .offset:         72
        .size:           8
        .value_kind:     global_buffer
      - .offset:         80
        .size:           4
        .value_kind:     by_value
      - .address_space:  global
        .offset:         88
        .size:           8
        .value_kind:     global_buffer
      - .address_space:  global
        .offset:         96
        .size:           8
        .value_kind:     global_buffer
    .group_segment_fixed_size: 11664
    .kernarg_segment_align: 8
    .kernarg_segment_size: 104
    .language:       OpenCL C
    .language_version:
      - 2
      - 0
    .max_flat_workgroup_size: 243
    .name:           bluestein_single_back_len2916_dim1_half_op_CI_CI
    .private_segment_fixed_size: 0
    .sgpr_count:     54
    .sgpr_spill_count: 0
    .symbol:         bluestein_single_back_len2916_dim1_half_op_CI_CI.kd
    .uniform_work_group_size: 1
    .uses_dynamic_stack: false
    .vgpr_count:     120
    .vgpr_spill_count: 0
    .wavefront_size: 32
    .workgroup_processor_mode: 1
amdhsa.target:   amdgcn-amd-amdhsa--gfx1030
amdhsa.version:
  - 1
  - 2
...

	.end_amdgpu_metadata
